;; amdgpu-corpus repo=ROCm/rocFFT kind=compiled arch=gfx950 opt=O3
	.text
	.amdgcn_target "amdgcn-amd-amdhsa--gfx950"
	.amdhsa_code_object_version 6
	.protected	bluestein_single_fwd_len1428_dim1_sp_op_CI_CI ; -- Begin function bluestein_single_fwd_len1428_dim1_sp_op_CI_CI
	.globl	bluestein_single_fwd_len1428_dim1_sp_op_CI_CI
	.p2align	8
	.type	bluestein_single_fwd_len1428_dim1_sp_op_CI_CI,@function
bluestein_single_fwd_len1428_dim1_sp_op_CI_CI: ; @bluestein_single_fwd_len1428_dim1_sp_op_CI_CI
; %bb.0:
	s_load_dwordx4 s[4:7], s[0:1], 0x28
	v_mul_u32_u24_e32 v1, 0x227, v0
	v_mov_b32_e32 v75, 0
	v_add_u32_sdwa v2, s2, v1 dst_sel:DWORD dst_unused:UNUSED_PAD src0_sel:DWORD src1_sel:WORD_1
	v_mov_b32_e32 v3, v75
	v_accvgpr_write_b32 a0, v2
	s_waitcnt lgkmcnt(0)
	v_cmp_gt_u64_e32 vcc, s[4:5], v[2:3]
	s_and_saveexec_b64 s[2:3], vcc
	s_cbranch_execz .LBB0_23
; %bb.1:
	s_load_dwordx2 s[12:13], s[0:1], 0x0
	s_load_dwordx2 s[14:15], s[0:1], 0x38
	s_movk_i32 s2, 0x77
	v_mul_lo_u16_sdwa v1, v1, s2 dst_sel:DWORD dst_unused:UNUSED_PAD src0_sel:WORD_1 src1_sel:DWORD
	v_sub_u16_e32 v74, v0, v1
	s_movk_i32 s2, 0x54
	v_cmp_gt_u16_e64 s[4:5], s2, v74
	v_lshlrev_b32_e32 v72, 3, v74
	s_and_saveexec_b64 s[2:3], s[4:5]
	s_cbranch_execz .LBB0_3
; %bb.2:
	s_load_dwordx2 s[8:9], s[0:1], 0x18
	v_accvgpr_read_b32 v10, a0
	v_mov_b32_e32 v0, s6
	v_mov_b32_e32 v1, s7
	;; [unrolled: 1-line block ×3, first 2 shown]
	s_waitcnt lgkmcnt(0)
	s_load_dwordx4 s[8:11], s[8:9], 0x0
	v_mov_b32_e32 v73, 0
	v_lshl_add_u64 v[18:19], s[12:13], 0, v[72:73]
	s_waitcnt lgkmcnt(0)
	v_mad_u64_u32 v[2:3], s[6:7], s10, v10, 0
	v_mad_u64_u32 v[4:5], s[6:7], s8, v74, 0
	v_mov_b32_e32 v6, v3
	v_mov_b32_e32 v8, v5
	v_mad_u64_u32 v[6:7], s[6:7], s11, v10, v[6:7]
	v_mov_b32_e32 v3, v6
	v_mad_u64_u32 v[6:7], s[6:7], s9, v74, v[8:9]
	v_mov_b32_e32 v5, v6
	v_lshl_add_u64 v[0:1], v[2:3], 3, v[0:1]
	v_lshl_add_u64 v[2:3], v[4:5], 3, v[0:1]
	v_mad_u64_u32 v[16:17], s[6:7], s8, v70, v[2:3]
	s_mul_i32 s6, s9, 0x2a0
	s_nop 0
	v_add_u32_e32 v17, s6, v17
	global_load_dwordx2 v[0:1], v[2:3], off
	s_nop 0
	global_load_dwordx2 v[2:3], v72, s[12:13]
	global_load_dwordx2 v[4:5], v72, s[12:13] offset:672
	global_load_dwordx2 v[6:7], v72, s[12:13] offset:1344
	;; [unrolled: 1-line block ×6, first 2 shown]
	global_load_dwordx2 v[22:23], v[16:17], off
	v_mad_u64_u32 v[16:17], s[10:11], s8, v70, v[16:17]
	v_add_u32_e32 v17, s6, v17
	v_mad_u64_u32 v[24:25], s[10:11], s8, v70, v[16:17]
	v_add_u32_e32 v25, s6, v25
	v_mad_u64_u32 v[26:27], s[10:11], s8, v70, v[24:25]
	v_add_u32_e32 v27, s6, v27
	global_load_dwordx2 v[16:17], v[16:17], off
	s_movk_i32 s7, 0x1000
	global_load_dwordx2 v[24:25], v[24:25], off
	v_add_co_u32_e32 v20, vcc, s7, v18
	global_load_dwordx2 v[28:29], v[26:27], off
	v_mad_u64_u32 v[26:27], s[10:11], s8, v70, v[26:27]
	v_add_u32_e32 v27, s6, v27
	global_load_dwordx2 v[30:31], v[26:27], off
	v_mad_u64_u32 v[26:27], s[10:11], s8, v70, v[26:27]
	v_add_u32_e32 v27, s6, v27
	;; [unrolled: 3-line block ×3, first 2 shown]
	v_addc_co_u32_e32 v21, vcc, 0, v19, vcc
	global_load_dwordx2 v[34:35], v[26:27], off
	global_load_dwordx2 v[36:37], v[20:21], off offset:608
	v_mad_u64_u32 v[26:27], s[10:11], s8, v70, v[26:27]
	v_add_u32_e32 v27, s6, v27
	global_load_dwordx2 v[38:39], v[26:27], off
	global_load_dwordx2 v[40:41], v[20:21], off offset:1280
	v_mad_u64_u32 v[26:27], s[10:11], s8, v70, v[26:27]
	v_add_u32_e32 v27, s6, v27
	global_load_dwordx2 v[42:43], v[26:27], off
	global_load_dwordx2 v[44:45], v[20:21], off offset:1952
	global_load_dwordx2 v[46:47], v[20:21], off offset:2624
	v_mad_u64_u32 v[26:27], s[10:11], s8, v70, v[26:27]
	v_add_u32_e32 v27, s6, v27
	global_load_dwordx2 v[48:49], v[26:27], off
	v_mad_u64_u32 v[26:27], s[10:11], s8, v70, v[26:27]
	v_add_u32_e32 v27, s6, v27
	global_load_dwordx2 v[50:51], v[26:27], off
	global_load_dwordx2 v[52:53], v[20:21], off offset:3296
	v_mad_u64_u32 v[26:27], s[10:11], s8, v70, v[26:27]
	v_add_u32_e32 v27, s6, v27
	s_movk_i32 s9, 0x2000
	global_load_dwordx2 v[54:55], v[26:27], off
	global_load_dwordx2 v[56:57], v[20:21], off offset:3968
	v_mad_u64_u32 v[20:21], s[10:11], s8, v70, v[26:27]
	v_add_co_u32_e32 v18, vcc, s9, v18
	v_add_u32_e32 v21, s6, v21
	s_nop 0
	v_addc_co_u32_e32 v19, vcc, 0, v19, vcc
	global_load_dwordx2 v[26:27], v[20:21], off
	global_load_dwordx2 v[58:59], v[18:19], off offset:544
	global_load_dwordx2 v[60:61], v[18:19], off offset:1888
	v_mad_u64_u32 v[20:21], s[10:11], s8, v70, v[20:21]
	v_add_u32_e32 v21, s6, v21
	global_load_dwordx2 v[62:63], v[20:21], off
	global_load_dwordx2 v[64:65], v[18:19], off offset:1216
	v_mad_u64_u32 v[20:21], s[10:11], s8, v70, v[20:21]
	v_add_u32_e32 v21, s6, v21
	global_load_dwordx2 v[66:67], v[20:21], off
	;; [unrolled: 4-line block ×3, first 2 shown]
	s_waitcnt vmcnt(32)
	v_mul_f32_e32 v20, v1, v3
	v_mul_f32_e32 v3, v0, v3
	v_fmac_f32_e32 v20, v0, v2
	v_fma_f32 v21, v1, v2, -v3
	s_waitcnt vmcnt(25)
	v_mul_f32_e32 v0, v23, v5
	v_mul_f32_e32 v1, v22, v5
	v_fmac_f32_e32 v0, v22, v4
	v_fma_f32 v1, v23, v4, -v1
	ds_write2_b64 v72, v[20:21], v[0:1] offset1:84
	v_add_u32_e32 v4, 0x800, v72
	s_waitcnt vmcnt(24)
	v_mul_f32_e32 v0, v16, v7
	v_fma_f32 v1, v17, v6, -v0
	v_mul_f32_e32 v0, v17, v7
	s_waitcnt vmcnt(23)
	v_mul_f32_e32 v2, v25, v9
	v_mul_f32_e32 v3, v24, v9
	v_fmac_f32_e32 v0, v16, v6
	v_fmac_f32_e32 v2, v24, v8
	v_fma_f32 v3, v25, v8, -v3
	ds_write2_b64 v72, v[0:1], v[2:3] offset0:168 offset1:252
	s_waitcnt vmcnt(22)
	v_mul_f32_e32 v0, v29, v11
	v_mul_f32_e32 v1, v28, v11
	s_waitcnt vmcnt(21)
	v_mul_f32_e32 v2, v31, v13
	v_mul_f32_e32 v3, v30, v13
	v_fmac_f32_e32 v0, v28, v10
	v_fma_f32 v1, v29, v10, -v1
	v_fmac_f32_e32 v2, v30, v12
	v_fma_f32 v3, v31, v12, -v3
	ds_write2_b64 v4, v[0:1], v[2:3] offset0:80 offset1:164
	s_waitcnt vmcnt(20)
	v_mul_f32_e32 v0, v33, v15
	v_mul_f32_e32 v1, v32, v15
	s_waitcnt vmcnt(18)
	v_mul_f32_e32 v2, v35, v37
	v_mul_f32_e32 v3, v34, v37
	v_fmac_f32_e32 v0, v32, v14
	v_fma_f32 v1, v33, v14, -v1
	v_fmac_f32_e32 v2, v34, v36
	v_fma_f32 v3, v35, v36, -v3
	v_add_u32_e32 v4, 0xc00, v72
	ds_write2_b64 v4, v[0:1], v[2:3] offset0:120 offset1:204
	s_waitcnt vmcnt(16)
	v_mul_f32_e32 v0, v39, v41
	v_mul_f32_e32 v1, v38, v41
	s_waitcnt vmcnt(14)
	v_mul_f32_e32 v2, v43, v45
	v_mul_f32_e32 v3, v42, v45
	v_fmac_f32_e32 v0, v38, v40
	v_fma_f32 v1, v39, v40, -v1
	v_fmac_f32_e32 v2, v42, v44
	v_fma_f32 v3, v43, v44, -v3
	v_add_u32_e32 v4, 0x1000, v72
	;; [unrolled: 12-line block ×5, first 2 shown]
	ds_write2_b64 v4, v[0:1], v[2:3] offset0:152 offset1:236
	s_waitcnt vmcnt(0)
	v_mul_f32_e32 v0, v19, v69
	v_mul_f32_e32 v1, v18, v69
	v_fmac_f32_e32 v0, v18, v68
	v_fma_f32 v1, v19, v68, -v1
	ds_write_b64 v72, v[0:1] offset:10752
.LBB0_3:
	s_or_b64 exec, exec, s[2:3]
	s_load_dwordx2 s[2:3], s[0:1], 0x20
	s_load_dwordx2 s[6:7], s[0:1], 0x8
	v_mov_b32_e32 v0, 0
	v_mov_b32_e32 v1, 0
	s_waitcnt lgkmcnt(0)
	s_barrier
	s_waitcnt lgkmcnt(0)
                                        ; implicit-def: $vgpr6
                                        ; implicit-def: $vgpr16
                                        ; implicit-def: $vgpr10
                                        ; implicit-def: $vgpr24
                                        ; implicit-def: $vgpr22
                                        ; implicit-def: $vgpr34
                                        ; implicit-def: $vgpr28
                                        ; implicit-def: $vgpr58
	s_and_saveexec_b64 s[0:1], s[4:5]
	s_cbranch_execz .LBB0_5
; %bb.4:
	v_add_u32_e32 v4, 0x800, v72
	v_add_u32_e32 v12, 0x1800, v72
	ds_read2_b64 v[0:3], v72 offset1:84
	ds_read2_b64 v[28:31], v72 offset0:168 offset1:252
	ds_read2_b64 v[20:23], v4 offset0:80 offset1:164
	v_add_u32_e32 v4, 0xc00, v72
	ds_read2_b64 v[16:19], v12 offset0:72 offset1:156
	v_add_u32_e32 v12, 0x1c00, v72
	ds_read2_b64 v[8:11], v4 offset0:120 offset1:204
	v_add_u32_e32 v4, 0x1000, v72
	ds_read2_b64 v[24:27], v12 offset0:112 offset1:196
	v_add_u32_e32 v12, 0x2000, v72
	ds_read2_b64 v[4:7], v4 offset0:160 offset1:244
	ds_read2_b64 v[32:35], v12 offset0:152 offset1:236
	ds_read_b64 v[58:59], v72 offset:10752
.LBB0_5:
	s_or_b64 exec, exec, s[0:1]
	s_waitcnt lgkmcnt(0)
	v_pk_add_f32 v[40:41], v[2:3], v[58:59] neg_lo:[0,1] neg_hi:[0,1]
	s_mov_b32 s30, 0xbf2c7751
	v_pk_add_f32 v[36:37], v[58:59], v[2:3]
	v_pk_add_f32 v[44:45], v[28:29], v[34:35] neg_lo:[0,1] neg_hi:[0,1]
	s_mov_b32 s8, 0x3f3d2fb0
	v_pk_mul_f32 v[12:13], v[40:41], s[30:31] op_sel_hi:[1,0]
	s_mov_b32 s22, 0xbf7ee86f
	v_pk_add_f32 v[38:39], v[34:35], v[28:29]
	v_pk_fma_f32 v[68:69], v[36:37], s[8:9], v[12:13] op_sel:[0,0,1] op_sel_hi:[1,0,0]
	v_pk_fma_f32 v[66:67], v[36:37], s[8:9], v[12:13] op_sel:[0,0,1] op_sel_hi:[1,0,0] neg_lo:[0,0,1] neg_hi:[0,0,1]
	s_mov_b32 s0, 0x3dbcf732
	v_pk_mul_f32 v[12:13], v[44:45], s[22:23] op_sel_hi:[1,0]
	s_mov_b32 s50, 0xbf65296c
	s_mov_b32 s18, 0xbf4c4adb
	v_pk_fma_f32 v[78:79], v[38:39], s[0:1], v[12:13] op_sel:[0,0,1] op_sel_hi:[1,0,0]
	v_pk_fma_f32 v[70:71], v[38:39], s[0:1], v[12:13] op_sel:[0,0,1] op_sel_hi:[1,0,0] neg_lo:[0,0,1] neg_hi:[0,0,1]
	s_mov_b32 s10, 0x3ee437d1
	v_pk_mul_f32 v[12:13], v[40:41], s[50:51] op_sel_hi:[1,0]
	s_mov_b32 s16, 0xbf1a4643
	v_pk_mul_f32 v[14:15], v[44:45], s[18:19] op_sel_hi:[1,0]
	v_pk_fma_f32 v[84:85], v[36:37], s[10:11], v[12:13] op_sel:[0,0,1] op_sel_hi:[1,0,0]
	v_pk_fma_f32 v[80:81], v[38:39], s[16:17], v[14:15] op_sel:[0,0,1] op_sel_hi:[1,0,0]
	v_pk_fma_f32 v[64:65], v[38:39], s[16:17], v[14:15] op_sel:[0,0,1] op_sel_hi:[1,0,0] neg_lo:[0,0,1] neg_hi:[0,0,1]
	v_mov_b32_e32 v14, v68
	v_mov_b32_e32 v15, v67
	v_pk_fma_f32 v[82:83], v[36:37], s[10:11], v[12:13] op_sel:[0,0,1] op_sel_hi:[1,0,0] neg_lo:[0,0,1] neg_hi:[0,0,1]
	v_pk_add_f32 v[14:15], v[14:15], v[0:1]
	v_mov_b32_e32 v12, v84
	v_mov_b32_e32 v13, v83
	;; [unrolled: 1-line block ×4, first 2 shown]
	v_pk_add_f32 v[12:13], v[12:13], v[0:1]
	v_pk_add_f32 v[14:15], v[46:47], v[14:15]
	v_mov_b32_e32 v46, v80
	v_mov_b32_e32 v47, v65
	v_pk_add_f32 v[12:13], v[46:47], v[12:13]
	v_pk_add_f32 v[46:47], v[30:31], v[32:33] neg_lo:[0,1] neg_hi:[0,1]
	v_pk_add_f32 v[42:43], v[32:33], v[30:31]
	v_pk_mul_f32 v[48:49], v[46:47], s[18:19] op_sel_hi:[1,0]
	s_mov_b32 s20, 0x3e3c28d5
	v_pk_fma_f32 v[88:89], v[42:43], s[16:17], v[48:49] op_sel:[0,0,1] op_sel_hi:[1,0,0]
	v_pk_fma_f32 v[92:93], v[42:43], s[16:17], v[48:49] op_sel:[0,0,1] op_sel_hi:[1,0,0] neg_lo:[0,0,1] neg_hi:[0,0,1]
	v_mov_b32_e32 v48, v88
	v_mov_b32_e32 v49, v93
	v_pk_add_f32 v[14:15], v[48:49], v[14:15]
	s_mov_b32 s24, 0xbf7ba420
	v_pk_mul_f32 v[48:49], v[46:47], s[20:21] op_sel_hi:[1,0]
	s_mov_b32 s26, 0xbe3c28d5
	v_pk_fma_f32 v[98:99], v[42:43], s[24:25], v[48:49] op_sel:[0,0,1] op_sel_hi:[1,0,0]
	v_pk_fma_f32 v[86:87], v[42:43], s[24:25], v[48:49] op_sel:[0,0,1] op_sel_hi:[1,0,0] neg_lo:[0,0,1] neg_hi:[0,0,1]
	v_mov_b32_e32 v48, v98
	v_mov_b32_e32 v49, v87
	v_pk_add_f32 v[108:109], v[20:21], v[26:27] neg_lo:[0,1] neg_hi:[0,1]
	v_pk_add_f32 v[12:13], v[48:49], v[12:13]
	v_pk_add_f32 v[48:49], v[26:27], v[20:21]
	v_pk_mul_f32 v[50:51], v[108:109], s[26:27] op_sel:[1,0] op_sel_hi:[0,0]
	v_pk_fma_f32 v[100:101], v[48:49], s[24:25], v[50:51] op_sel_hi:[1,0,1]
	v_pk_fma_f32 v[102:103], v[48:49], s[24:25], v[50:51] op_sel_hi:[1,0,1] neg_lo:[0,0,1] neg_hi:[0,0,1]
	v_mov_b32_e32 v50, v100
	v_mov_b32_e32 v51, v103
	s_mov_b32 s46, 0x3f763a35
	v_pk_add_f32 v[14:15], v[50:51], v[14:15]
	s_mov_b32 s20, 0xbe8c1d8e
	v_pk_mul_f32 v[50:51], v[108:109], s[46:47] op_sel:[1,0] op_sel_hi:[0,0]
	v_pk_fma_f32 v[94:95], v[48:49], s[20:21], v[50:51] op_sel_hi:[1,0,1]
	v_pk_fma_f32 v[96:97], v[48:49], s[20:21], v[50:51] op_sel_hi:[1,0,1] neg_lo:[0,0,1] neg_hi:[0,0,1]
	v_mov_b32_e32 v50, v94
	v_mov_b32_e32 v51, v97
	s_mov_b32 s54, 0x3f06c442
	v_pk_add_f32 v[118:119], v[22:23], v[24:25] neg_lo:[0,1] neg_hi:[0,1]
	v_pk_add_f32 v[12:13], v[50:51], v[12:13]
	s_mov_b32 s28, 0xbf59a7d5
	v_pk_add_f32 v[54:55], v[24:25], v[22:23]
	v_pk_mul_f32 v[50:51], v[118:119], s[54:55] op_sel:[1,0] op_sel_hi:[0,0]
	v_pk_fma_f32 v[110:111], v[54:55], s[28:29], v[50:51] op_sel_hi:[1,0,1]
	v_pk_fma_f32 v[112:113], v[54:55], s[28:29], v[50:51] op_sel_hi:[1,0,1] neg_lo:[0,0,1] neg_hi:[0,0,1]
	v_mov_b32_e32 v50, v110
	v_mov_b32_e32 v51, v113
	s_mov_b32 s34, 0x3f2c7751
	v_pk_add_f32 v[14:15], v[50:51], v[14:15]
	v_pk_mul_f32 v[50:51], v[118:119], s[34:35] op_sel:[1,0] op_sel_hi:[0,0]
	v_pk_fma_f32 v[104:105], v[54:55], s[8:9], v[50:51] op_sel_hi:[1,0,1]
	v_pk_fma_f32 v[106:107], v[54:55], s[8:9], v[50:51] op_sel_hi:[1,0,1] neg_lo:[0,0,1] neg_hi:[0,0,1]
	v_mov_b32_e32 v50, v104
	v_mov_b32_e32 v51, v107
	v_pk_add_f32 v[128:129], v[8:9], v[18:19] neg_lo:[0,1] neg_hi:[0,1]
	v_pk_add_f32 v[12:13], v[50:51], v[12:13]
	v_pk_add_f32 v[56:57], v[18:19], v[8:9]
	v_pk_mul_f32 v[50:51], v[128:129], s[46:47] op_sel:[1,0] op_sel_hi:[0,0]
	v_pk_fma_f32 v[120:121], v[56:57], s[20:21], v[50:51] op_sel_hi:[1,0,1]
	v_pk_fma_f32 v[122:123], v[56:57], s[20:21], v[50:51] op_sel_hi:[1,0,1] neg_lo:[0,0,1] neg_hi:[0,0,1]
	v_mov_b32_e32 v50, v120
	v_mov_b32_e32 v51, v123
	s_mov_b32 s44, 0xbeb8f4ab
	v_pk_add_f32 v[14:15], v[50:51], v[14:15]
	s_mov_b32 s36, 0x3f6eb680
	v_pk_mul_f32 v[50:51], v[128:129], s[44:45] op_sel:[1,0] op_sel_hi:[0,0]
	v_pk_fma_f32 v[114:115], v[56:57], s[36:37], v[50:51] op_sel_hi:[1,0,1]
	v_pk_fma_f32 v[116:117], v[56:57], s[36:37], v[50:51] op_sel_hi:[1,0,1] neg_lo:[0,0,1] neg_hi:[0,0,1]
	v_mov_b32_e32 v50, v114
	v_mov_b32_e32 v51, v117
	s_mov_b32 s38, 0x3f65296c
	v_pk_add_f32 v[140:141], v[10:11], v[16:17] neg_lo:[0,1] neg_hi:[0,1]
	v_pk_add_f32 v[12:13], v[50:51], v[12:13]
	v_pk_add_f32 v[60:61], v[16:17], v[10:11]
	v_pk_mul_f32 v[50:51], v[140:141], s[38:39] op_sel:[1,0] op_sel_hi:[0,0]
	v_pk_fma_f32 v[130:131], v[60:61], s[10:11], v[50:51] op_sel_hi:[1,0,1]
	v_pk_fma_f32 v[132:133], v[60:61], s[10:11], v[50:51] op_sel_hi:[1,0,1] neg_lo:[0,0,1] neg_hi:[0,0,1]
	v_mov_b32_e32 v50, v130
	v_mov_b32_e32 v51, v133
	v_pk_add_f32 v[14:15], v[50:51], v[14:15]
	v_pk_mul_f32 v[50:51], v[140:141], s[22:23] op_sel:[1,0] op_sel_hi:[0,0]
	v_pk_fma_f32 v[124:125], v[60:61], s[0:1], v[50:51] op_sel_hi:[1,0,1]
	v_pk_fma_f32 v[126:127], v[60:61], s[0:1], v[50:51] op_sel_hi:[1,0,1] neg_lo:[0,0,1] neg_hi:[0,0,1]
	v_mov_b32_e32 v50, v124
	v_mov_b32_e32 v51, v127
	s_mov_b32 s42, 0x3eb8f4ab
	v_pk_add_f32 v[144:145], v[4:5], v[6:7] neg_lo:[0,1] neg_hi:[0,1]
	v_pk_add_f32 v[12:13], v[50:51], v[12:13]
	v_pk_add_f32 v[62:63], v[6:7], v[4:5]
	v_pk_mul_f32 v[50:51], v[144:145], s[42:43] op_sel:[1,0] op_sel_hi:[0,0]
	v_pk_fma_f32 v[138:139], v[62:63], s[36:37], v[50:51] op_sel_hi:[1,0,1]
	v_pk_fma_f32 v[142:143], v[62:63], s[36:37], v[50:51] op_sel_hi:[1,0,1] neg_lo:[0,0,1] neg_hi:[0,0,1]
	s_mov_b32 s40, 0xbf06c442
	v_mov_b32_e32 v50, v138
	v_mov_b32_e32 v51, v143
	v_pk_add_f32 v[14:15], v[50:51], v[14:15]
	v_pk_mul_f32 v[50:51], v[144:145], s[40:41] op_sel:[1,0] op_sel_hi:[0,0]
	v_pk_fma_f32 v[134:135], v[62:63], s[28:29], v[50:51] op_sel_hi:[1,0,1]
	v_pk_fma_f32 v[136:137], v[62:63], s[28:29], v[50:51] op_sel_hi:[1,0,1] neg_lo:[0,0,1] neg_hi:[0,0,1]
	v_mov_b32_e32 v50, v134
	v_mov_b32_e32 v51, v137
	v_pk_add_f32 v[12:13], v[50:51], v[12:13]
	v_pk_mul_f32 v[50:51], v[40:41], s[44:45] op_sel_hi:[1,0]
	v_pk_mul_f32 v[52:53], v[44:45], s[30:31] op_sel_hi:[1,0]
	v_pk_fma_f32 v[178:179], v[36:37], s[36:37], v[50:51] op_sel:[0,0,1] op_sel_hi:[1,0,0]
	v_pk_fma_f32 v[170:171], v[36:37], s[36:37], v[50:51] op_sel:[0,0,1] op_sel_hi:[1,0,0] neg_lo:[0,0,1] neg_hi:[0,0,1]
	v_mov_b32_e32 v50, v178
	v_mov_b32_e32 v51, v171
	v_pk_fma_f32 v[180:181], v[38:39], s[8:9], v[52:53] op_sel:[0,0,1] op_sel_hi:[1,0,0]
	v_pk_fma_f32 v[176:177], v[38:39], s[8:9], v[52:53] op_sel:[0,0,1] op_sel_hi:[1,0,0] neg_lo:[0,0,1] neg_hi:[0,0,1]
	v_pk_add_f32 v[50:51], v[50:51], v[0:1]
	v_mov_b32_e32 v52, v180
	v_mov_b32_e32 v53, v177
	v_pk_add_f32 v[50:51], v[52:53], v[50:51]
	v_pk_mul_f32 v[52:53], v[46:47], s[50:51] op_sel_hi:[1,0]
	s_mov_b32 s48, 0xbf763a35
	v_pk_fma_f32 v[190:191], v[42:43], s[10:11], v[52:53] op_sel:[0,0,1] op_sel_hi:[1,0,0]
	v_pk_fma_f32 v[192:193], v[42:43], s[10:11], v[52:53] op_sel:[0,0,1] op_sel_hi:[1,0,0] neg_lo:[0,0,1] neg_hi:[0,0,1]
	v_mov_b32_e32 v52, v190
	v_mov_b32_e32 v53, v193
	v_pk_add_f32 v[50:51], v[52:53], v[50:51]
	v_pk_mul_f32 v[52:53], v[108:109], s[22:23] op_sel:[1,0] op_sel_hi:[0,0]
	v_pk_fma_f32 v[198:199], v[48:49], s[0:1], v[52:53] op_sel_hi:[1,0,1]
	v_pk_fma_f32 v[200:201], v[48:49], s[0:1], v[52:53] op_sel_hi:[1,0,1] neg_lo:[0,0,1] neg_hi:[0,0,1]
	v_mov_b32_e32 v52, v198
	v_mov_b32_e32 v53, v201
	v_pk_add_f32 v[50:51], v[52:53], v[50:51]
	v_pk_mul_f32 v[52:53], v[118:119], s[48:49] op_sel:[1,0] op_sel_hi:[0,0]
	v_pk_fma_f32 v[202:203], v[54:55], s[20:21], v[52:53] op_sel_hi:[1,0,1]
	v_pk_fma_f32 v[204:205], v[54:55], s[20:21], v[52:53] op_sel_hi:[1,0,1] neg_lo:[0,0,1] neg_hi:[0,0,1]
	;; [unrolled: 6-line block ×5, first 2 shown]
	v_mov_b32_e32 v52, v214
	v_mov_b32_e32 v53, v217
	v_pk_add_f32 v[244:245], v[52:53], v[50:51]
	v_pk_mul_f32 v[50:51], v[40:41], s[22:23] op_sel_hi:[1,0]
	v_pk_mul_f32 v[52:53], v[44:45], s[26:27] op_sel_hi:[1,0]
	v_pk_fma_f32 v[146:147], v[36:37], s[0:1], v[50:51] op_sel:[0,0,1] op_sel_hi:[1,0,0]
	v_pk_fma_f32 v[148:149], v[36:37], s[0:1], v[50:51] op_sel:[0,0,1] op_sel_hi:[1,0,0] neg_lo:[0,0,1] neg_hi:[0,0,1]
	v_mov_b32_e32 v50, v146
	v_mov_b32_e32 v51, v149
	v_pk_fma_f32 v[150:151], v[38:39], s[24:25], v[52:53] op_sel:[0,0,1] op_sel_hi:[1,0,0]
	v_pk_fma_f32 v[152:153], v[38:39], s[24:25], v[52:53] op_sel:[0,0,1] op_sel_hi:[1,0,0] neg_lo:[0,0,1] neg_hi:[0,0,1]
	v_mov_b32_e32 v52, v150
	v_mov_b32_e32 v53, v153
	v_pk_add_f32 v[50:51], v[50:51], v[0:1]
	s_mov_b32 s52, 0x3f4c4adb
	v_pk_add_f32 v[50:51], v[52:53], v[50:51]
	v_pk_mul_f32 v[52:53], v[46:47], s[46:47] op_sel_hi:[1,0]
	v_pk_mul_f32 v[196:197], v[44:45], s[54:55] op_sel_hi:[1,0]
	v_pk_fma_f32 v[154:155], v[42:43], s[20:21], v[52:53] op_sel:[0,0,1] op_sel_hi:[1,0,0]
	v_pk_fma_f32 v[156:157], v[42:43], s[20:21], v[52:53] op_sel:[0,0,1] op_sel_hi:[1,0,0] neg_lo:[0,0,1] neg_hi:[0,0,1]
	v_mov_b32_e32 v52, v154
	v_mov_b32_e32 v53, v157
	v_pk_add_f32 v[50:51], v[52:53], v[50:51]
	v_pk_mul_f32 v[52:53], v[108:109], s[42:43] op_sel:[1,0] op_sel_hi:[0,0]
	v_pk_fma_f32 v[158:159], v[48:49], s[36:37], v[52:53] op_sel_hi:[1,0,1]
	v_pk_fma_f32 v[160:161], v[48:49], s[36:37], v[52:53] op_sel_hi:[1,0,1] neg_lo:[0,0,1] neg_hi:[0,0,1]
	v_mov_b32_e32 v52, v158
	v_mov_b32_e32 v53, v161
	v_pk_add_f32 v[50:51], v[52:53], v[50:51]
	v_pk_mul_f32 v[52:53], v[118:119], s[50:51] op_sel:[1,0] op_sel_hi:[0,0]
	v_pk_fma_f32 v[162:163], v[54:55], s[10:11], v[52:53] op_sel_hi:[1,0,1]
	v_pk_fma_f32 v[164:165], v[54:55], s[10:11], v[52:53] op_sel_hi:[1,0,1] neg_lo:[0,0,1] neg_hi:[0,0,1]
	;; [unrolled: 6-line block ×5, first 2 shown]
	v_mov_b32_e32 v52, v182
	v_mov_b32_e32 v53, v185
	v_pk_add_f32 v[52:53], v[52:53], v[50:51]
	v_pk_mul_f32 v[50:51], v[40:41], s[48:49] op_sel_hi:[1,0]
	v_pk_fma_f32 v[194:195], v[38:39], s[28:29], v[196:197] op_sel:[0,0,1] op_sel_hi:[1,0,0]
	v_pk_fma_f32 v[186:187], v[36:37], s[20:21], v[50:51] op_sel:[0,0,1] op_sel_hi:[1,0,0]
	v_pk_fma_f32 v[188:189], v[36:37], s[20:21], v[50:51] op_sel:[0,0,1] op_sel_hi:[1,0,0] neg_lo:[0,0,1] neg_hi:[0,0,1]
	v_mov_b32_e32 v50, v186
	v_mov_b32_e32 v51, v189
	v_pk_fma_f32 v[196:197], v[38:39], s[28:29], v[196:197] op_sel:[0,0,1] op_sel_hi:[1,0,0] neg_lo:[0,0,1] neg_hi:[0,0,1]
	v_mov_b32_e32 v218, v194
	v_mov_b32_e32 v219, v197
	v_pk_add_f32 v[50:51], v[50:51], v[0:1]
	v_pk_mul_f32 v[220:221], v[46:47], s[34:35] op_sel_hi:[1,0]
	v_pk_add_f32 v[50:51], v[218:219], v[50:51]
	v_pk_fma_f32 v[218:219], v[42:43], s[8:9], v[220:221] op_sel:[0,0,1] op_sel_hi:[1,0,0]
	v_pk_fma_f32 v[220:221], v[42:43], s[8:9], v[220:221] op_sel:[0,0,1] op_sel_hi:[1,0,0] neg_lo:[0,0,1] neg_hi:[0,0,1]
	v_mov_b32_e32 v222, v218
	v_mov_b32_e32 v223, v221
	v_pk_mul_f32 v[224:225], v[108:109], s[50:51] op_sel:[1,0] op_sel_hi:[0,0]
	v_pk_add_f32 v[50:51], v[222:223], v[50:51]
	v_pk_fma_f32 v[222:223], v[48:49], s[10:11], v[224:225] op_sel_hi:[1,0,1]
	v_pk_fma_f32 v[224:225], v[48:49], s[10:11], v[224:225] op_sel_hi:[1,0,1] neg_lo:[0,0,1] neg_hi:[0,0,1]
	v_mov_b32_e32 v226, v222
	v_mov_b32_e32 v227, v225
	v_pk_mul_f32 v[228:229], v[118:119], s[26:27] op_sel:[1,0] op_sel_hi:[0,0]
	v_pk_add_f32 v[50:51], v[226:227], v[50:51]
	v_pk_fma_f32 v[226:227], v[54:55], s[24:25], v[228:229] op_sel_hi:[1,0,1]
	v_pk_fma_f32 v[228:229], v[54:55], s[24:25], v[228:229] op_sel_hi:[1,0,1] neg_lo:[0,0,1] neg_hi:[0,0,1]
	s_mov_b32 s54, 0x3f7ee86f
	v_mov_b32_e32 v230, v226
	v_mov_b32_e32 v231, v229
	v_pk_mul_f32 v[232:233], v[128:129], s[54:55] op_sel:[1,0] op_sel_hi:[0,0]
	v_pk_add_f32 v[50:51], v[230:231], v[50:51]
	v_pk_fma_f32 v[230:231], v[56:57], s[0:1], v[232:233] op_sel_hi:[1,0,1]
	v_pk_fma_f32 v[232:233], v[56:57], s[0:1], v[232:233] op_sel_hi:[1,0,1] neg_lo:[0,0,1] neg_hi:[0,0,1]
	v_mov_b32_e32 v234, v230
	v_mov_b32_e32 v235, v233
	v_pk_mul_f32 v[236:237], v[140:141], s[44:45] op_sel:[1,0] op_sel_hi:[0,0]
	v_pk_add_f32 v[50:51], v[234:235], v[50:51]
	v_pk_fma_f32 v[234:235], v[60:61], s[36:37], v[236:237] op_sel_hi:[1,0,1]
	v_pk_fma_f32 v[236:237], v[60:61], s[36:37], v[236:237] op_sel_hi:[1,0,1] neg_lo:[0,0,1] neg_hi:[0,0,1]
	;; [unrolled: 6-line block ×3, first 2 shown]
	v_mov_b32_e32 v242, v238
	v_mov_b32_e32 v243, v241
	v_pk_add_f32 v[50:51], v[242:243], v[50:51]
	v_mul_lo_u16_e32 v172, 17, v74
	s_barrier
	s_and_saveexec_b64 s[50:51], s[4:5]
	s_cbranch_execz .LBB0_7
; %bb.6:
	v_pk_add_f32 v[2:3], v[2:3], v[0:1]
	v_mov_b32_e32 v83, v85
	v_pk_add_f32 v[2:3], v[28:29], v[2:3]
	v_mov_b32_e32 v67, v69
	;; [unrolled: 2-line block ×9, first 2 shown]
	v_pk_add_f32 v[2:3], v[16:17], v[2:3]
	v_pk_add_f32 v[16:17], v[66:67], v[0:1]
	;; [unrolled: 1-line block ×10, first 2 shown]
	v_mov_b32_e32 v107, v105
	v_pk_add_f32 v[16:17], v[112:113], v[16:17]
	v_mov_b32_e32 v123, v121
	v_pk_add_f32 v[18:19], v[106:107], v[18:19]
	;; [unrolled: 2-line block ×6, first 2 shown]
	v_mov_b32_e32 v137, v135
	v_lshlrev_b32_e32 v73, 3, v172
	v_pk_add_f32 v[16:17], v[142:143], v[16:17]
	v_pk_add_f32 v[18:19], v[136:137], v[18:19]
	v_mov_b32_e32 v149, v147
	v_mov_b32_e32 v189, v187
	ds_write2_b64 v73, v[16:17], v[18:19] offset0:2 offset1:3
	v_pk_add_f32 v[16:17], v[148:149], v[0:1]
	v_mov_b32_e32 v153, v151
	v_pk_add_f32 v[18:19], v[188:189], v[0:1]
	v_mov_b32_e32 v197, v195
	;; [unrolled: 2-line block ×6, first 2 shown]
	v_mov_b32_e32 v171, v179
	v_pk_add_f32 v[16:17], v[160:161], v[16:17]
	v_mov_b32_e32 v165, v163
	v_pk_add_f32 v[18:19], v[224:225], v[18:19]
	v_mov_b32_e32 v229, v227
	v_mov_b32_e32 v177, v181
	v_pk_add_f32 v[4:5], v[170:171], v[0:1]
	v_pk_add_f32 v[16:17], v[164:165], v[16:17]
	v_mov_b32_e32 v169, v167
	v_pk_add_f32 v[18:19], v[228:229], v[18:19]
	v_mov_b32_e32 v233, v231
	;; [unrolled: 2-line block ×5, first 2 shown]
	v_pk_add_f32 v[2:3], v[24:25], v[2:3]
	v_pk_add_f32 v[4:5], v[192:193], v[4:5]
	v_mov_b32_e32 v201, v199
	v_pk_add_f32 v[16:17], v[174:175], v[16:17]
	v_mov_b32_e32 v185, v183
	;; [unrolled: 2-line block ×3, first 2 shown]
	v_pk_add_f32 v[2:3], v[26:27], v[2:3]
	v_pk_add_f32 v[4:5], v[200:201], v[4:5]
	v_mov_b32_e32 v205, v203
	v_pk_add_f32 v[16:17], v[184:185], v[16:17]
	v_pk_add_f32 v[18:19], v[240:241], v[18:19]
	;; [unrolled: 1-line block ×4, first 2 shown]
	v_mov_b32_e32 v209, v207
	ds_write2_b64 v73, v[16:17], v[18:19] offset0:4 offset1:5
	v_pk_mul_f32 v[16:17], v[40:41], s[18:19] op_sel_hi:[1,0]
	v_pk_add_f32 v[2:3], v[34:35], v[2:3]
	v_pk_add_f32 v[4:5], v[208:209], v[4:5]
	v_mov_b32_e32 v213, v211
	v_pk_mul_f32 v[18:19], v[44:45], s[46:47] op_sel_hi:[1,0]
	v_pk_fma_f32 v[32:33], v[36:37], s[16:17], v[16:17] op_sel:[0,0,1] op_sel_hi:[1,0,0] neg_lo:[0,0,1] neg_hi:[0,0,1]
	v_pk_fma_f32 v[16:17], v[36:37], s[16:17], v[16:17] op_sel:[0,0,1] op_sel_hi:[1,0,0]
	v_pk_add_f32 v[2:3], v[58:59], v[2:3]
	v_pk_add_f32 v[4:5], v[212:213], v[4:5]
	v_mov_b32_e32 v217, v215
	v_mov_b32_e32 v34, v32
	;; [unrolled: 1-line block ×3, first 2 shown]
	v_pk_fma_f32 v[58:59], v[38:39], s[20:21], v[18:19] op_sel:[0,0,1] op_sel_hi:[1,0,0] neg_lo:[0,0,1] neg_hi:[0,0,1]
	v_pk_fma_f32 v[18:19], v[38:39], s[20:21], v[18:19] op_sel:[0,0,1] op_sel_hi:[1,0,0]
	v_pk_add_f32 v[4:5], v[216:217], v[4:5]
	v_pk_mul_f32 v[20:21], v[46:47], s[44:45] op_sel_hi:[1,0]
	v_pk_add_f32 v[34:35], v[34:35], v[0:1]
	v_mov_b32_e32 v64, v58
	v_mov_b32_e32 v65, v19
	ds_write2_b64 v73, v[2:3], v[4:5] offset1:1
	v_mov_b32_e32 v2, v109
	v_mov_b32_e32 v3, v108
	v_pk_add_f32 v[34:35], v[64:65], v[34:35]
	v_pk_fma_f32 v[64:65], v[42:43], s[36:37], v[20:21] op_sel:[0,0,1] op_sel_hi:[1,0,0] neg_lo:[0,0,1] neg_hi:[0,0,1]
	v_pk_fma_f32 v[20:21], v[42:43], s[36:37], v[20:21] op_sel:[0,0,1] op_sel_hi:[1,0,0]
	v_pk_mul_f32 v[22:23], v[2:3], s[40:41] op_sel_hi:[1,0]
	v_mov_b32_e32 v66, v64
	v_mov_b32_e32 v67, v21
	v_mov_b32_e32 v4, v119
	v_mov_b32_e32 v5, v118
	v_pk_add_f32 v[34:35], v[66:67], v[34:35]
	v_pk_fma_f32 v[66:67], v[48:49], s[28:29], v[22:23] op_sel_hi:[1,0,1] neg_lo:[0,0,1] neg_hi:[0,0,1]
	v_pk_fma_f32 v[22:23], v[48:49], s[28:29], v[22:23] op_sel_hi:[1,0,1]
	v_pk_mul_f32 v[24:25], v[4:5], s[54:55] op_sel_hi:[1,0]
	v_mov_b32_e32 v68, v66
	v_mov_b32_e32 v69, v23
	v_mov_b32_e32 v6, v129
	v_mov_b32_e32 v7, v128
	v_pk_add_f32 v[34:35], v[68:69], v[34:35]
	v_pk_fma_f32 v[68:69], v[54:55], s[0:1], v[24:25] op_sel_hi:[1,0,1] neg_lo:[0,0,1] neg_hi:[0,0,1]
	v_pk_fma_f32 v[24:25], v[54:55], s[0:1], v[24:25] op_sel_hi:[1,0,1]
	;; [unrolled: 8-line block ×4, first 2 shown]
	v_pk_mul_f32 v[30:31], v[10:11], s[38:39] op_sel_hi:[1,0]
	v_mov_b32_e32 v80, v78
	v_mov_b32_e32 v81, v29
	v_pk_add_f32 v[34:35], v[80:81], v[34:35]
	v_pk_fma_f32 v[80:81], v[62:63], s[10:11], v[30:31] op_sel_hi:[1,0,1] neg_lo:[0,0,1] neg_hi:[0,0,1]
	v_pk_fma_f32 v[30:31], v[62:63], s[10:11], v[30:31] op_sel_hi:[1,0,1]
	v_mov_b32_e32 v82, v80
	v_mov_b32_e32 v83, v31
	v_pk_add_f32 v[34:35], v[82:83], v[34:35]
	v_pk_mul_f32 v[82:83], v[40:41], s[40:41] op_sel_hi:[1,0]
	v_pk_mul_f32 v[84:85], v[44:45], s[38:39] op_sel_hi:[1,0]
	v_pk_fma_f32 v[100:101], v[36:37], s[28:29], v[82:83] op_sel:[0,0,1] op_sel_hi:[1,0,0] neg_lo:[0,0,1] neg_hi:[0,0,1]
	v_pk_fma_f32 v[82:83], v[36:37], s[28:29], v[82:83] op_sel:[0,0,1] op_sel_hi:[1,0,0]
	v_mov_b32_e32 v102, v100
	v_mov_b32_e32 v103, v83
	v_pk_fma_f32 v[104:105], v[38:39], s[10:11], v[84:85] op_sel:[0,0,1] op_sel_hi:[1,0,0] neg_lo:[0,0,1] neg_hi:[0,0,1]
	v_pk_fma_f32 v[84:85], v[38:39], s[10:11], v[84:85] op_sel:[0,0,1] op_sel_hi:[1,0,0]
	v_pk_mul_f32 v[86:87], v[46:47], s[22:23] op_sel_hi:[1,0]
	v_pk_add_f32 v[102:103], v[102:103], v[0:1]
	v_mov_b32_e32 v106, v104
	v_mov_b32_e32 v107, v85
	v_pk_add_f32 v[102:103], v[106:107], v[102:103]
	v_pk_fma_f32 v[106:107], v[42:43], s[0:1], v[86:87] op_sel:[0,0,1] op_sel_hi:[1,0,0] neg_lo:[0,0,1] neg_hi:[0,0,1]
	v_pk_fma_f32 v[86:87], v[42:43], s[0:1], v[86:87] op_sel:[0,0,1] op_sel_hi:[1,0,0]
	v_pk_mul_f32 v[88:89], v[2:3], s[52:53] op_sel_hi:[1,0]
	v_mov_b32_e32 v108, v106
	v_mov_b32_e32 v109, v87
	v_pk_add_f32 v[102:103], v[108:109], v[102:103]
	v_pk_fma_f32 v[108:109], v[48:49], s[16:17], v[88:89] op_sel_hi:[1,0,1] neg_lo:[0,0,1] neg_hi:[0,0,1]
	v_pk_fma_f32 v[88:89], v[48:49], s[16:17], v[88:89] op_sel_hi:[1,0,1]
	v_pk_mul_f32 v[92:93], v[4:5], s[44:45] op_sel_hi:[1,0]
	v_mov_b32_e32 v110, v108
	v_mov_b32_e32 v111, v89
	v_pk_add_f32 v[102:103], v[110:111], v[102:103]
	v_pk_fma_f32 v[110:111], v[54:55], s[36:37], v[92:93] op_sel_hi:[1,0,1] neg_lo:[0,0,1] neg_hi:[0,0,1]
	v_pk_fma_f32 v[92:93], v[54:55], s[36:37], v[92:93] op_sel_hi:[1,0,1]
	;; [unrolled: 6-line block ×5, first 2 shown]
	v_mov_b32_e32 v118, v116
	v_mov_b32_e32 v119, v99
	v_pk_add_f32 v[102:103], v[118:119], v[102:103]
	ds_write2_b64 v73, v[34:35], v[102:103] offset0:6 offset1:7
	v_pk_mul_f32 v[34:35], v[40:41], s[26:27] op_sel_hi:[1,0]
	v_pk_mul_f32 v[40:41], v[44:45], s[42:43] op_sel_hi:[1,0]
	;; [unrolled: 1-line block ×3, first 2 shown]
	v_pk_fma_f32 v[46:47], v[36:37], s[24:25], v[34:35] op_sel:[0,0,1] op_sel_hi:[1,0,0] neg_lo:[0,0,1] neg_hi:[0,0,1]
	v_pk_fma_f32 v[34:35], v[36:37], s[24:25], v[34:35] op_sel:[0,0,1] op_sel_hi:[1,0,0]
	v_mov_b32_e32 v36, v46
	v_mov_b32_e32 v37, v35
	v_pk_fma_f32 v[102:103], v[38:39], s[36:37], v[40:41] op_sel:[0,0,1] op_sel_hi:[1,0,0] neg_lo:[0,0,1] neg_hi:[0,0,1]
	v_pk_fma_f32 v[38:39], v[38:39], s[36:37], v[40:41] op_sel:[0,0,1] op_sel_hi:[1,0,0]
	v_pk_add_f32 v[36:37], v[36:37], v[0:1]
	v_mov_b32_e32 v40, v102
	v_mov_b32_e32 v41, v39
	v_pk_add_f32 v[36:37], v[40:41], v[36:37]
	v_pk_fma_f32 v[40:41], v[42:43], s[28:29], v[44:45] op_sel:[0,0,1] op_sel_hi:[1,0,0] neg_lo:[0,0,1] neg_hi:[0,0,1]
	v_pk_fma_f32 v[42:43], v[42:43], s[28:29], v[44:45] op_sel:[0,0,1] op_sel_hi:[1,0,0]
	v_pk_mul_f32 v[2:3], v[2:3], s[34:35] op_sel_hi:[1,0]
	v_mov_b32_e32 v44, v40
	v_mov_b32_e32 v45, v43
	v_pk_add_f32 v[36:37], v[44:45], v[36:37]
	v_pk_fma_f32 v[44:45], v[48:49], s[8:9], v[2:3] op_sel_hi:[1,0,1] neg_lo:[0,0,1] neg_hi:[0,0,1]
	v_pk_fma_f32 v[2:3], v[48:49], s[8:9], v[2:3] op_sel_hi:[1,0,1]
	v_pk_mul_f32 v[4:5], v[4:5], s[18:19] op_sel_hi:[1,0]
	v_mov_b32_e32 v48, v44
	v_mov_b32_e32 v49, v3
	v_pk_add_f32 v[36:37], v[48:49], v[36:37]
	v_pk_fma_f32 v[48:49], v[54:55], s[16:17], v[4:5] op_sel_hi:[1,0,1] neg_lo:[0,0,1] neg_hi:[0,0,1]
	v_pk_fma_f32 v[4:5], v[54:55], s[16:17], v[4:5] op_sel_hi:[1,0,1]
	v_mov_b32_e32 v35, v47
	v_pk_mul_f32 v[6:7], v[6:7], s[38:39] op_sel_hi:[1,0]
	v_mov_b32_e32 v54, v48
	v_mov_b32_e32 v55, v5
	v_pk_add_f32 v[34:35], v[34:35], v[0:1]
	v_mov_b32_e32 v39, v103
	v_pk_add_f32 v[36:37], v[54:55], v[36:37]
	v_pk_fma_f32 v[54:55], v[56:57], s[10:11], v[6:7] op_sel_hi:[1,0,1] neg_lo:[0,0,1] neg_hi:[0,0,1]
	v_pk_fma_f32 v[6:7], v[56:57], s[10:11], v[6:7] op_sel_hi:[1,0,1]
	v_pk_add_f32 v[34:35], v[38:39], v[34:35]
	v_mov_b32_e32 v43, v41
	v_pk_mul_f32 v[8:9], v[8:9], s[48:49] op_sel_hi:[1,0]
	v_mov_b32_e32 v56, v54
	v_mov_b32_e32 v57, v7
	v_pk_add_f32 v[34:35], v[42:43], v[34:35]
	v_mov_b32_e32 v3, v45
	v_pk_add_f32 v[36:37], v[56:57], v[36:37]
	v_pk_fma_f32 v[56:57], v[60:61], s[20:21], v[8:9] op_sel_hi:[1,0,1] neg_lo:[0,0,1] neg_hi:[0,0,1]
	v_pk_fma_f32 v[8:9], v[60:61], s[20:21], v[8:9] op_sel_hi:[1,0,1]
	v_pk_add_f32 v[2:3], v[2:3], v[34:35]
	;; [unrolled: 10-line block ×3, first 2 shown]
	v_mov_b32_e32 v9, v57
	v_mov_b32_e32 v62, v60
	;; [unrolled: 1-line block ×3, first 2 shown]
	v_pk_add_f32 v[2:3], v[8:9], v[2:3]
	v_mov_b32_e32 v11, v61
	v_pk_add_f32 v[36:37], v[62:63], v[36:37]
	v_pk_add_f32 v[2:3], v[10:11], v[2:3]
	v_mov_b32_e32 v83, v101
	v_mov_b32_e32 v17, v33
	ds_write2_b64 v73, v[36:37], v[2:3] offset0:8 offset1:9
	v_pk_add_f32 v[2:3], v[82:83], v[0:1]
	v_mov_b32_e32 v85, v105
	v_pk_add_f32 v[0:1], v[16:17], v[0:1]
	v_mov_b32_e32 v19, v59
	;; [unrolled: 2-line block ×14, first 2 shown]
	v_pk_add_f32 v[2:3], v[98:99], v[2:3]
	v_pk_add_f32 v[0:1], v[30:31], v[0:1]
	ds_write2_b64 v73, v[2:3], v[0:1] offset0:10 offset1:11
	ds_write2_b64 v73, v[50:51], v[52:53] offset0:12 offset1:13
	ds_write2_b64 v73, v[12:13], v[14:15] offset0:14 offset1:15
	ds_write_b64 v73, v[244:245] offset:128
.LBB0_7:
	s_or_b64 exec, exec, s[50:51]
	s_mov_b64 s[0:1], 0x165
	s_load_dwordx4 s[8:11], s[2:3], 0x0
	v_lshl_add_u64 v[0:1], v[74:75], 0, s[0:1]
	s_mov_b32 s2, 0xf0f1
	v_mul_u32_u24_sdwa v1, v0, s2 dst_sel:DWORD dst_unused:UNUSED_PAD src0_sel:WORD_0 src1_sel:DWORD
	v_lshrrev_b32_e32 v32, 20, v1
	s_mov_b64 s[0:1], 0x1dc
	v_mul_lo_u16_e32 v1, 17, v32
	v_lshl_add_u64 v[2:3], v[74:75], 0, s[0:1]
	s_mov_b64 s[0:1], 0x253
	v_sub_u16_e32 v33, v0, v1
	v_lshl_add_u64 v[4:5], v[74:75], 0, s[0:1]
	v_lshlrev_b32_e32 v0, 3, v33
	s_waitcnt lgkmcnt(0)
	s_barrier
	global_load_dwordx2 v[80:81], v0, s[6:7]
	v_mul_u32_u24_sdwa v0, v2, s2 dst_sel:DWORD dst_unused:UNUSED_PAD src0_sel:WORD_0 src1_sel:DWORD
	v_mul_u32_u24_sdwa v1, v4, s2 dst_sel:DWORD dst_unused:UNUSED_PAD src0_sel:WORD_0 src1_sel:DWORD
	v_lshrrev_b32_e32 v34, 20, v0
	v_lshrrev_b32_e32 v36, 20, v1
	v_mul_lo_u16_e32 v0, 17, v34
	v_mul_lo_u16_e32 v1, 17, v36
	v_sub_u16_e32 v35, v2, v0
	v_sub_u16_e32 v37, v4, v1
	v_lshlrev_b32_e32 v0, 3, v35
	v_lshlrev_b32_e32 v1, 3, v37
	s_mov_b64 s[0:1], 0xee
	global_load_dwordx2 v[92:93], v0, s[6:7]
	global_load_dwordx2 v[82:83], v1, s[6:7]
	v_lshl_add_u64 v[0:1], v[74:75], 0, s[0:1]
	v_mul_u32_u24_sdwa v1, v0, s2 dst_sel:DWORD dst_unused:UNUSED_PAD src0_sel:WORD_0 src1_sel:DWORD
	v_lshrrev_b32_e32 v10, 20, v1
	v_mul_lo_u16_e32 v1, 17, v10
	v_sub_u16_e32 v11, v0, v1
	v_lshlrev_b32_e32 v0, 3, v11
	s_movk_i32 s16, 0xf1
	v_add_u16_e32 v73, 0x77, v74
	global_load_dwordx2 v[88:89], v0, s[6:7]
	v_mul_lo_u16_sdwa v0, v73, s16 dst_sel:DWORD dst_unused:UNUSED_PAD src0_sel:BYTE_0 src1_sel:DWORD
	v_lshrrev_b16_e32 v20, 12, v0
	v_mul_lo_u16_e32 v1, 17, v20
	v_sub_u16_e32 v1, v73, v1
	v_and_b32_e32 v24, 0xff, v1
	v_lshlrev_b32_e32 v1, 3, v24
	global_load_dwordx2 v[86:87], v1, s[6:7]
	v_mul_lo_u16_sdwa v1, v74, s16 dst_sel:DWORD dst_unused:UNUSED_PAD src0_sel:BYTE_0 src1_sel:DWORD
	v_lshrrev_b16_e32 v21, 12, v1
	v_mul_lo_u16_e32 v1, 17, v21
	v_sub_u16_e32 v1, v74, v1
	v_and_b32_e32 v25, 0xff, v1
	v_lshlrev_b32_e32 v1, 3, v25
	global_load_dwordx2 v[84:85], v1, s[6:7]
	v_mov_b32_e32 v1, 3
	v_lshlrev_b32_sdwa v75, v1, v74 dst_sel:DWORD dst_unused:UNUSED_PAD src0_sel:DWORD src1_sel:WORD_0
	v_add_u32_e32 v1, 0x1c00, v75
	v_add_u32_e32 v16, 0x2400, v75
	;; [unrolled: 1-line block ×3, first 2 shown]
	ds_read2_b64 v[2:5], v1 offset0:56 offset1:175
	ds_read2_b64 v[6:9], v38 offset0:92 offset1:211
	ds_read2_b64 v[16:19], v16 offset0:38 offset1:157
	v_mul_lo_u16_e32 v26, 34, v21
	v_mul_u32_u24_e32 v27, 34, v20
	v_and_b32_e32 v26, 0xfe, v26
	v_add_u32_e32 v22, 0x400, v75
	v_add_lshl_u32 v153, v26, v25, 3
	v_add_lshl_u32 v157, v27, v24, 3
	v_mad_legacy_u16 v39, v10, 34, v11
	ds_read2_b64 v[20:23], v22 offset0:110 offset1:229
	v_lshlrev_b32_e32 v160, 3, v39
	s_movk_i32 s0, 0x55
	v_cmp_gt_u16_e64 s[2:3], s0, v74
	s_waitcnt vmcnt(5)
	v_mov_b32_e32 v10, v81
	s_waitcnt lgkmcnt(3)
	v_pk_mul_f32 v[24:25], v[4:5], v[80:81] op_sel:[1,0] op_sel_hi:[0,1]
	v_pk_mul_f32 v[10:11], v[4:5], v[10:11] op_sel:[1,0] op_sel_hi:[0,1]
	v_mov_b32_e32 v25, v24
	v_pk_fma_f32 v[10:11], v[4:5], v[80:81], v[10:11] neg_lo:[0,0,1] neg_hi:[0,0,1]
	v_pk_fma_f32 v[4:5], v[4:5], v[80:81], v[24:25] op_sel:[1,0,0] op_sel_hi:[0,1,1]
	v_mad_legacy_u16 v4, v32, 34, v33
	v_lshlrev_b32_e32 v161, 3, v4
	v_add_u32_e32 v4, 0x1400, v75
	v_mov_b32_e32 v11, v5
	s_waitcnt lgkmcnt(0)
	v_pk_add_f32 v[40:41], v[22:23], v[10:11] neg_lo:[0,1] neg_hi:[0,1]
	s_waitcnt vmcnt(4)
	v_pk_mul_f32 v[26:27], v[16:17], v[92:93] op_sel:[0,1]
	s_waitcnt vmcnt(3)
	v_pk_mul_f32 v[28:29], v[18:19], v[82:83] op_sel:[0,1]
	v_pk_fma_f32 v[30:31], v[16:17], v[92:93], v[26:27] op_sel:[0,0,1] op_sel_hi:[1,1,0] neg_lo:[0,0,1] neg_hi:[0,0,1]
	v_pk_fma_f32 v[16:17], v[16:17], v[92:93], v[26:27] op_sel:[0,0,1] op_sel_hi:[1,0,0]
	v_pk_fma_f32 v[26:27], v[18:19], v[82:83], v[28:29] op_sel:[0,0,1] op_sel_hi:[1,1,0] neg_lo:[0,0,1] neg_hi:[0,0,1]
	v_pk_fma_f32 v[18:19], v[18:19], v[82:83], v[28:29] op_sel:[0,0,1] op_sel_hi:[1,0,0]
	v_mov_b32_e32 v31, v17
	v_mov_b32_e32 v27, v19
	v_pk_add_f32 v[44:45], v[6:7], v[30:31] neg_lo:[0,1] neg_hi:[0,1]
	v_pk_add_f32 v[48:49], v[8:9], v[26:27] neg_lo:[0,1] neg_hi:[0,1]
	v_pk_fma_f32 v[42:43], v[6:7], 2.0, v[44:45] op_sel_hi:[1,0,1] neg_lo:[0,0,1] neg_hi:[0,0,1]
	v_pk_fma_f32 v[46:47], v[8:9], 2.0, v[48:49] op_sel_hi:[1,0,1] neg_lo:[0,0,1] neg_hi:[0,0,1]
	s_waitcnt vmcnt(2)
	v_pk_mul_f32 v[8:9], v[2:3], v[88:89] op_sel:[0,1]
	ds_read2_b64 v[4:7], v4 offset0:74 offset1:193
	v_pk_fma_f32 v[10:11], v[2:3], v[88:89], v[8:9] op_sel:[0,0,1] op_sel_hi:[1,1,0] neg_lo:[0,0,1] neg_hi:[0,0,1]
	v_pk_fma_f32 v[2:3], v[2:3], v[88:89], v[8:9] op_sel:[0,0,1] op_sel_hi:[1,0,0]
	v_pk_fma_f32 v[16:17], v[22:23], 2.0, v[40:41] op_sel_hi:[1,0,1] neg_lo:[0,0,1] neg_hi:[0,0,1]
	v_mov_b32_e32 v11, v3
	v_pk_add_f32 v[2:3], v[20:21], v[10:11] neg_lo:[0,1] neg_hi:[0,1]
	ds_read2_b64 v[8:11], v75 offset1:119
	s_waitcnt vmcnt(1) lgkmcnt(1)
	v_pk_mul_f32 v[18:19], v[6:7], v[86:87] op_sel:[0,1]
	s_waitcnt lgkmcnt(0)
	v_pk_fma_f32 v[22:23], v[6:7], v[86:87], v[18:19] op_sel:[0,0,1] op_sel_hi:[1,1,0] neg_lo:[0,0,1] neg_hi:[0,0,1]
	v_pk_fma_f32 v[6:7], v[6:7], v[86:87], v[18:19] op_sel:[0,0,1] op_sel_hi:[1,0,0]
	s_waitcnt vmcnt(0)
	v_pk_mul_f32 v[18:19], v[4:5], v[84:85] op_sel:[0,1]
	v_mov_b32_e32 v23, v7
	v_pk_add_f32 v[6:7], v[10:11], v[22:23] neg_lo:[0,1] neg_hi:[0,1]
	v_pk_fma_f32 v[22:23], v[4:5], v[84:85], v[18:19] op_sel:[0,0,1] op_sel_hi:[1,1,0] neg_lo:[0,0,1] neg_hi:[0,0,1]
	v_pk_fma_f32 v[4:5], v[4:5], v[84:85], v[18:19] op_sel:[0,0,1] op_sel_hi:[1,0,0]
	v_pk_fma_f32 v[10:11], v[10:11], 2.0, v[6:7] op_sel_hi:[1,0,1] neg_lo:[0,0,1] neg_hi:[0,0,1]
	v_mov_b32_e32 v23, v5
	v_pk_add_f32 v[4:5], v[8:9], v[22:23] neg_lo:[0,1] neg_hi:[0,1]
	s_barrier
	v_pk_fma_f32 v[8:9], v[8:9], 2.0, v[4:5] op_sel_hi:[1,0,1] neg_lo:[0,0,1] neg_hi:[0,0,1]
	ds_write2_b64 v153, v[8:9], v[4:5] offset1:17
	ds_write2_b64 v157, v[10:11], v[6:7] offset1:17
	v_pk_fma_f32 v[4:5], v[20:21], 2.0, v[2:3] op_sel_hi:[1,0,1] neg_lo:[0,0,1] neg_hi:[0,0,1]
	ds_write2_b64 v160, v[4:5], v[2:3] offset1:17
	ds_write2_b64 v161, v[16:17], v[40:41] offset1:17
	v_mad_legacy_u16 v2, v34, 34, v35
	v_lshlrev_b32_e32 v164, 3, v2
	v_mad_legacy_u16 v2, v36, 34, v37
	v_lshlrev_b32_e32 v165, 3, v2
	v_add_u32_e32 v2, 0x1800, v75
	ds_write2_b64 v164, v[42:43], v[44:45] offset1:17
	ds_write2_b64 v165, v[46:47], v[48:49] offset1:17
	s_waitcnt lgkmcnt(0)
	s_barrier
	ds_read2_b64 v[28:31], v75 offset1:204
	ds_read2_b64 v[32:35], v38 offset0:24 offset1:228
	ds_read2_b64 v[36:39], v2 offset0:48 offset1:252
	ds_read_b64 v[54:55], v75 offset:9792
	s_and_saveexec_b64 s[0:1], s[2:3]
	s_cbranch_execz .LBB0_9
; %bb.8:
	v_add_u32_e32 v2, 0x300, v75
	ds_read2_b64 v[40:43], v2 offset0:23 offset1:227
	v_add_u32_e32 v2, 0x1000, v75
	ds_read2_b64 v[44:47], v2 offset0:15 offset1:219
	ds_read2_b64 v[48:51], v1 offset0:39 offset1:243
	ds_read_b64 v[52:53], v75 offset:10744
.LBB0_9:
	s_or_b64 exec, exec, s[0:1]
	v_lshrrev_b16_e32 v193, 13, v0
	v_mul_lo_u16_e32 v0, 34, v193
	v_mul_lo_u16_sdwa v4, v74, s16 dst_sel:DWORD dst_unused:UNUSED_PAD src0_sel:BYTE_0 src1_sel:DWORD
	v_sub_u16_e32 v0, v73, v0
	v_lshrrev_b16_e32 v76, 13, v4
	v_and_b32_e32 v152, 0xff, v0
	v_mul_lo_u16_e32 v4, 34, v76
	v_mad_u64_u32 v[56:57], s[0:1], v152, 48, s[6:7]
	v_sub_u16_e32 v4, v74, v4
	global_load_dwordx4 v[0:3], v[56:57], off offset:168
	global_load_dwordx4 v[8:11], v[56:57], off offset:152
	v_and_b32_e32 v77, 0xff, v4
	v_mad_u64_u32 v[58:59], s[0:1], v77, 48, s[6:7]
	global_load_dwordx4 v[24:27], v[58:59], off offset:152
	global_load_dwordx4 v[20:23], v[58:59], off offset:136
	;; [unrolled: 1-line block ×4, first 2 shown]
	s_waitcnt lgkmcnt(2)
	v_mov_b32_e32 v56, v47
	s_waitcnt lgkmcnt(1)
	v_mov_b32_e32 v58, v49
	v_mov_b32_e32 v60, v43
	s_waitcnt lgkmcnt(0)
	v_mov_b32_e32 v66, v53
	v_mov_b32_e32 v62, v45
	;; [unrolled: 1-line block ×3, first 2 shown]
	s_mov_b32 s26, 0x3eae86e6
	s_mov_b32 s22, 0x3d64c772
	;; [unrolled: 1-line block ×12, first 2 shown]
	s_barrier
	s_waitcnt vmcnt(5)
	v_pk_mul_f32 v[78:79], v[50:51], v[0:1]
	s_waitcnt vmcnt(4)
	v_pk_mul_f32 v[56:57], v[56:57], v[8:9] op_sel:[0,1] op_sel_hi:[1,0]
	v_pk_mul_f32 v[68:69], v[46:47], v[8:9] op_sel:[0,1] op_sel_hi:[1,0]
	v_pk_mul_f32 v[70:71], v[48:49], v[10:11]
	v_mov_b32_e32 v156, v11
	v_pk_mul_f32 v[94:95], v[52:53], v[2:3]
	v_pk_fma_f32 v[56:57], v[46:47], v[8:9], v[56:57] neg_lo:[0,0,1] neg_hi:[0,0,1]
	v_mov_b32_e32 v78, v3
	s_waitcnt vmcnt(3)
	v_mul_f32_e32 v99, v37, v26
	s_waitcnt vmcnt(2)
	v_mul_f32_e32 v61, v33, v23
	v_mov_b32_e32 v57, v68
	v_mov_b32_e32 v68, v71
	v_pk_mul_f32 v[102:103], v[48:49], v[156:157]
	s_waitcnt vmcnt(0)
	v_mov_b32_e32 v98, v5
	v_pk_mul_f32 v[106:107], v[44:45], v[6:7]
	v_mov_b32_e32 v59, v94
	v_mul_f32_e32 v101, v36, v27
	v_pk_mul_f32 v[104:105], v[42:43], v[4:5]
	v_mov_b32_e32 v100, v7
	v_mov_b32_e32 v106, v79
	v_pk_mul_f32 v[78:79], v[52:53], v[78:79]
	v_fma_f32 v94, v32, v22, -v61
	v_pk_fma_f32 v[48:49], v[48:49], v[10:11], v[68:69] neg_lo:[0,0,1] neg_hi:[0,0,1]
	v_pk_fma_f32 v[68:69], v[58:59], v[10:11], v[102:103]
	v_pk_mul_f32 v[102:103], v[42:43], v[98:99]
	v_mov_b32_e32 v61, v56
	v_mul_f32_e32 v63, v39, v17
	v_mov_b32_e32 v49, v104
	v_pk_mul_f32 v[104:105], v[44:45], v[100:101]
	v_pk_fma_f32 v[52:53], v[52:53], v[2:3], v[58:59] neg_lo:[1,0,0] neg_hi:[1,0,0]
	v_pk_fma_f32 v[58:59], v[66:67], v[2:3], v[78:79]
	v_pk_fma_f32 v[66:67], v[60:61], v[4:5], v[102:103]
	v_pk_mul_f32 v[102:103], v[30:31], v[20:21] op_sel_hi:[1,0]
	v_mov_b32_e32 v70, v1
	v_fma_f32 v96, v38, v16, -v63
	v_pk_fma_f32 v[46:47], v[46:47], v[8:9], v[56:57] op_sel:[0,1,0] op_sel_hi:[1,0,1]
	v_pk_fma_f32 v[62:63], v[62:63], v[6:7], v[104:105]
	v_pk_fma_f32 v[104:105], v[30:31], v[20:21], v[102:103] op_sel:[0,1,1] op_sel_hi:[1,1,0]
	v_pk_fma_f32 v[30:31], v[30:31], v[20:21], v[102:103] op_sel:[0,1,1] op_sel_hi:[1,1,0] neg_lo:[1,0,0] neg_hi:[1,0,0]
	v_mov_b32_e32 v102, v33
	v_mov_b32_e32 v103, v36
	;; [unrolled: 1-line block ×5, first 2 shown]
	v_pk_mul_f32 v[70:71], v[50:51], v[70:71]
	v_mov_b32_e32 v46, v107
	v_pk_fma_f32 v[50:51], v[50:51], v[0:1], v[106:107] neg_lo:[0,0,1] neg_hi:[0,0,1]
	v_mov_b32_e32 v106, v22
	v_mov_b32_e32 v107, v26
	v_pk_mul_f32 v[32:33], v[32:33], v[36:37]
	v_mul_f32_e32 v95, v35, v24
	v_mul_f32_e32 v97, v34, v25
	v_pk_fma_f32 v[36:37], v[102:103], v[22:23], v[32:33]
	v_pk_fma_f32 v[32:33], v[102:103], v[106:107], v[32:33] neg_lo:[0,0,1] neg_hi:[0,0,1]
	v_mov_b32_e32 v102, v39
	v_mov_b32_e32 v103, v34
	;; [unrolled: 1-line block ×7, first 2 shown]
	v_pk_mul_f32 v[34:35], v[38:39], v[34:35]
	v_mov_b32_e32 v30, v19
	v_pk_fma_f32 v[38:39], v[102:103], v[16:17], v[34:35]
	v_pk_fma_f32 v[34:35], v[102:103], v[106:107], v[34:35] neg_lo:[0,0,1] neg_hi:[0,0,1]
	v_pk_mul_f32 v[102:103], v[54:55], v[18:19] op_sel_hi:[1,0]
	v_pk_fma_f32 v[64:65], v[64:65], v[0:1], v[70:71]
	v_pk_fma_f32 v[42:43], v[42:43], v[4:5], v[48:49] neg_lo:[1,0,0] neg_hi:[1,0,0]
	v_pk_fma_f32 v[106:107], v[54:55], v[30:31], v[102:103] op_sel:[0,0,1] op_sel_hi:[1,0,0]
	v_pk_fma_f32 v[54:55], v[54:55], v[30:31], v[102:103] op_sel:[0,0,1] op_sel_hi:[1,0,0] neg_lo:[1,0,0] neg_hi:[1,0,0]
	v_pk_fma_f32 v[44:45], v[44:45], v[6:7], v[46:47] neg_lo:[0,0,1] neg_hi:[0,0,1]
	v_mov_b32_e32 v49, v64
	v_mov_b32_e32 v70, v53
	;; [unrolled: 1-line block ×3, first 2 shown]
	v_pk_add_f32 v[78:79], v[66:67], v[58:59]
	v_mov_b32_e32 v57, v62
	v_mov_b32_e32 v46, v43
	;; [unrolled: 1-line block ×11, first 2 shown]
	v_pk_add_f32 v[48:49], v[56:57], v[48:49]
	v_pk_add_f32 v[56:57], v[46:47], v[70:71]
	v_mov_b32_e32 v43, v78
	v_mov_b32_e32 v47, v78
	v_pk_add_f32 v[78:79], v[94:95], v[96:97]
	v_pk_add_f32 v[102:103], v[104:105], v[106:107]
	v_pk_add_f32 v[104:105], v[104:105], v[106:107] neg_lo:[0,1] neg_hi:[0,1]
	v_pk_add_f32 v[106:107], v[36:37], v[38:39]
	v_pk_add_f32 v[30:31], v[98:99], v[100:101]
	v_pk_add_f32 v[36:37], v[36:37], v[38:39] neg_lo:[0,1] neg_hi:[0,1]
	v_mov_b32_e32 v38, v31
	v_mov_b32_e32 v39, v94
	;; [unrolled: 1-line block ×9, first 2 shown]
	v_pk_add_f32 v[50:51], v[44:45], v[50:51]
	v_mov_b32_e32 v59, v53
	v_mov_b32_e32 v63, v44
	v_pk_add_f32 v[38:39], v[38:39], v[54:55] neg_lo:[0,1] neg_hi:[0,1]
	v_pk_add_f32 v[100:101], v[78:79], v[30:31]
	v_pk_add_f32 v[32:33], v[34:35], v[32:33]
	v_pk_add_f32 v[44:45], v[68:69], v[60:61] neg_lo:[0,1] neg_hi:[0,1]
	v_pk_add_f32 v[52:53], v[66:67], v[58:59] neg_lo:[0,1] neg_hi:[0,1]
	;; [unrolled: 1-line block ×3, first 2 shown]
	v_pk_add_f32 v[60:61], v[50:51], v[56:57]
	v_pk_add_f32 v[62:63], v[48:49], v[42:43]
	v_mov_b32_e32 v51, v49
	v_mov_b32_e32 v42, v56
	;; [unrolled: 1-line block ×7, first 2 shown]
	v_pk_add_f32 v[42:43], v[50:51], v[42:43] neg_lo:[0,1] neg_hi:[0,1]
	v_mov_b32_e32 v46, v48
	v_mov_b32_e32 v51, v57
	;; [unrolled: 1-line block ×4, first 2 shown]
	v_pk_add_f32 v[96:97], v[96:97], v[36:37] neg_lo:[0,1] neg_hi:[0,1]
	v_pk_add_f32 v[34:35], v[34:35], v[78:79] neg_lo:[0,1] neg_hi:[0,1]
	v_mov_b32_e32 v31, v101
	v_mov_b32_e32 v108, v32
	;; [unrolled: 1-line block ×3, first 2 shown]
	v_pk_add_f32 v[32:33], v[100:101], v[32:33]
	v_pk_add_f32 v[50:51], v[46:47], v[50:51] neg_lo:[0,1] neg_hi:[0,1]
	v_pk_add_f32 v[64:65], v[56:57], v[48:49] neg_lo:[0,1] neg_hi:[0,1]
	v_mov_b32_e32 v46, v44
	v_mov_b32_e32 v47, v53
	;; [unrolled: 1-line block ×6, first 2 shown]
	v_pk_add_f32 v[54:55], v[54:55], v[38:39] neg_lo:[0,1] neg_hi:[0,1]
	v_pk_mul_f32 v[96:97], v[96:97], s[28:29]
	v_pk_add_f32 v[98:99], v[36:37], v[38:39]
	v_pk_add_f32 v[108:109], v[30:31], v[108:109] neg_lo:[0,1] neg_hi:[0,1]
	v_pk_add_f32 v[28:29], v[28:29], v[32:33]
	v_pk_mul_f32 v[34:35], v[34:35], s[22:23]
	v_pk_add_f32 v[66:67], v[44:45], v[58:59]
	v_pk_add_f32 v[68:69], v[46:47], v[68:69] neg_lo:[0,1] neg_hi:[0,1]
	v_mov_b32_e32 v46, v52
	v_mov_b32_e32 v47, v45
	;; [unrolled: 1-line block ×3, first 2 shown]
	v_pk_add_f32 v[48:49], v[60:61], v[48:49]
	v_pk_mul_f32 v[94:95], v[54:55], s[26:27]
	v_pk_add_f32 v[98:99], v[98:99], v[104:105]
	v_pk_mul_f32 v[100:101], v[108:109], s[24:25]
	v_pk_fma_f32 v[32:33], v[32:33], s[20:21], v[28:29] op_sel_hi:[1,0,1] neg_lo:[1,0,0] neg_hi:[1,0,0]
	v_pk_fma_f32 v[108:109], v[108:109], s[24:25], v[34:35]
	v_pk_fma_f32 v[54:55], v[54:55], s[26:27], v[96:97]
	v_pk_add_f32 v[70:71], v[46:47], v[44:45] neg_lo:[0,1] neg_hi:[0,1]
	v_pk_add_f32 v[44:45], v[40:41], v[48:49]
	v_pk_mul_f32 v[40:41], v[50:51], s[22:23]
	v_pk_add_f32 v[108:109], v[108:109], v[32:33]
	v_pk_fma_f32 v[54:55], v[98:99], s[16:17], v[54:55] op_sel_hi:[1,0,1]
	v_pk_fma_f32 v[60:61], v[48:49], s[20:21], v[44:45] op_sel_hi:[1,0,1] neg_lo:[1,0,0] neg_hi:[1,0,0]
	v_pk_fma_f32 v[48:49], v[64:65], s[24:25], v[40:41]
	v_mov_b32_e32 v51, v41
	v_mul_u32_u24_e32 v41, 0xee, v76
	v_pk_add_f32 v[110:111], v[108:109], v[54:55]
	v_pk_add_f32 v[54:55], v[108:109], v[54:55] neg_lo:[0,1] neg_hi:[0,1]
	v_pk_add_f32 v[46:47], v[58:59], v[52:53] neg_lo:[0,1] neg_hi:[0,1]
	v_pk_add_f32 v[56:57], v[66:67], v[52:53]
	v_pk_mul_f32 v[52:53], v[64:65], s[24:25]
	v_pk_mul_f32 v[58:59], v[70:71], s[26:27]
	;; [unrolled: 1-line block ×3, first 2 shown]
	v_add_lshl_u32 v192, v41, v77, 3
	v_mov_b32_e32 v108, v110
	v_mov_b32_e32 v109, v55
	;; [unrolled: 1-line block ×8, first 2 shown]
	ds_write2_b64 v192, v[28:29], v[108:109] offset1:34
	v_pk_add_f32 v[28:29], v[36:37], v[104:105] neg_lo:[0,1] neg_hi:[0,1]
	v_pk_add_f32 v[30:31], v[78:79], v[30:31] neg_lo:[0,1] neg_hi:[0,1]
	v_mov_b32_e32 v36, v100
	v_mov_b32_e32 v37, v35
	;; [unrolled: 1-line block ×6, first 2 shown]
	v_pk_fma_f32 v[50:51], v[42:43], s[0:1], v[50:51] op_sel_hi:[1,0,1] neg_lo:[1,0,1] neg_hi:[1,0,1]
	v_pk_fma_f32 v[64:65], v[70:71], s[26:27], v[62:63]
	v_pk_fma_f32 v[66:67], v[46:47], s[18:19], v[66:67] op_sel_hi:[1,0,1] neg_lo:[1,0,1] neg_hi:[1,0,1]
	v_pk_fma_f32 v[36:37], v[30:31], s[0:1], v[36:37] op_sel_hi:[1,0,1] neg_lo:[1,0,1] neg_hi:[1,0,1]
	;; [unrolled: 1-line block ×5, first 2 shown]
	v_pk_add_f32 v[70:71], v[48:49], v[60:61]
	v_pk_add_f32 v[48:49], v[50:51], v[60:61]
	v_pk_fma_f32 v[50:51], v[56:57], s[16:17], v[64:65] op_sel_hi:[1,0,1]
	v_pk_fma_f32 v[64:65], v[56:57], s[16:17], v[66:67] op_sel_hi:[1,0,1]
	v_pk_add_f32 v[36:37], v[36:37], v[32:33]
	v_pk_fma_f32 v[38:39], v[98:99], s[16:17], v[38:39] op_sel_hi:[1,0,1]
	v_pk_add_f32 v[30:31], v[30:31], v[32:33]
	v_pk_fma_f32 v[28:29], v[98:99], s[16:17], v[28:29] op_sel_hi:[1,0,1]
	v_pk_add_f32 v[66:67], v[48:49], v[64:65] neg_lo:[0,1] neg_hi:[0,1]
	v_pk_add_f32 v[64:65], v[48:49], v[64:65]
	v_pk_add_f32 v[68:69], v[70:71], v[50:51] neg_lo:[0,1] neg_hi:[0,1]
	v_pk_add_f32 v[70:71], v[70:71], v[50:51]
	v_pk_add_f32 v[78:79], v[36:37], v[38:39]
	v_pk_add_f32 v[36:37], v[36:37], v[38:39] neg_lo:[0,1] neg_hi:[0,1]
	v_pk_add_f32 v[32:33], v[30:31], v[28:29] neg_lo:[0,1] neg_hi:[0,1]
	v_pk_add_f32 v[28:29], v[30:31], v[28:29]
	v_mov_b32_e32 v48, v66
	v_mov_b32_e32 v49, v65
	;; [unrolled: 1-line block ×11, first 2 shown]
	ds_write2_b64 v192, v[38:39], v[30:31] offset0:68 offset1:102
	ds_write2_b64 v192, v[28:29], v[36:37] offset0:136 offset1:170
	ds_write_b64 v192, v[54:55] offset:1632
	s_and_saveexec_b64 s[20:21], s[2:3]
	s_cbranch_execz .LBB0_11
; %bb.10:
	v_pk_mul_f32 v[28:29], v[42:43], s[0:1] op_sel_hi:[1,0]
	v_pk_mul_f32 v[32:33], v[46:47], s[18:19] op_sel_hi:[1,0]
	s_movk_i32 s0, 0xf1
	v_mov_b32_e32 v63, v59
	v_mov_b32_e32 v41, v53
	v_pk_mul_f32 v[30:31], v[56:57], s[16:17] op_sel_hi:[1,0]
	v_mul_lo_u16_sdwa v34, v73, s0 dst_sel:DWORD dst_unused:UNUSED_PAD src0_sel:BYTE_0 src1_sel:DWORD
	v_pk_add_f32 v[32:33], v[32:33], v[62:63] neg_lo:[0,1] neg_hi:[0,1]
	v_pk_add_f32 v[28:29], v[28:29], v[40:41] neg_lo:[0,1] neg_hi:[0,1]
	v_lshrrev_b16_e32 v34, 13, v34
	v_pk_add_f32 v[30:31], v[30:31], v[32:33]
	v_pk_add_f32 v[28:29], v[28:29], v[60:61]
	v_mul_u32_u24_e32 v34, 0xee, v34
	v_pk_add_f32 v[32:33], v[28:29], v[30:31] neg_lo:[0,1] neg_hi:[0,1]
	v_pk_add_f32 v[28:29], v[28:29], v[30:31]
	v_add_lshl_u32 v34, v34, v152, 3
	v_mov_b32_e32 v71, v69
	v_mov_b32_e32 v65, v67
	v_mov_b32_e32 v30, v32
	v_mov_b32_e32 v31, v29
	v_mov_b32_e32 v29, v33
	ds_write2_b64 v34, v[44:45], v[70:71] offset1:34
	ds_write2_b64 v34, v[64:65], v[30:31] offset0:68 offset1:102
	ds_write2_b64 v34, v[28:29], v[48:49] offset0:136 offset1:170
	ds_write_b64 v34, v[50:51] offset:1632
.LBB0_11:
	s_or_b64 exec, exec, s[20:21]
	v_mad_u64_u32 v[28:29], s[0:1], v74, 40, s[6:7]
	s_movk_i32 s0, 0x1000
	s_nop 0
	v_add_co_u32_e32 v30, vcc, s0, v28
	s_mov_b64 s[0:1], 0x1980
	s_waitcnt lgkmcnt(0)
	s_barrier
	global_load_dwordx4 v[36:39], v[28:29], off offset:1784
	global_load_dwordx4 v[40:43], v[28:29], off offset:1768
	v_addc_co_u32_e32 v31, vcc, 0, v29, vcc
	v_lshl_add_u64 v[44:45], v[28:29], 0, s[0:1]
	global_load_dwordx2 v[96:97], v[28:29], off offset:1800
	global_load_dwordx4 v[32:35], v[30:31], off offset:2432
	s_nop 0
	global_load_dwordx4 v[28:31], v[44:45], off offset:16
	global_load_dwordx2 v[94:95], v[44:45], off offset:32
	v_add_u32_e32 v73, 0x1400, v75
	v_add_u32_e32 v76, 0x2400, v75
	;; [unrolled: 1-line block ×5, first 2 shown]
	ds_read2_b64 v[58:61], v75 offset1:119
	ds_read2_b64 v[44:47], v77 offset0:110 offset1:229
	ds_read2_b64 v[52:55], v90 offset0:92 offset1:211
	;; [unrolled: 1-line block ×5, first 2 shown]
	s_waitcnt lgkmcnt(4)
	v_mov_b32_e32 v56, v47
	s_waitcnt lgkmcnt(3)
	v_mov_b32_e32 v70, v55
	s_mov_b32 s0, 0x3f5db3d7
	s_mov_b32 s6, 0.5
	s_mov_b32 s7, s0
	s_mov_b32 s17, 0xbf5db3d7
	;; [unrolled: 1-line block ×3, first 2 shown]
	s_waitcnt vmcnt(5) lgkmcnt(2)
	v_pk_mul_f32 v[106:107], v[62:63], v[36:37] op_sel:[0,1]
	s_waitcnt vmcnt(4)
	v_pk_mul_f32 v[78:79], v[44:45], v[40:41] op_sel_hi:[1,0]
	v_mov_b32_e32 v102, v41
	v_mov_b32_e32 v104, v43
	;; [unrolled: 1-line block ×3, first 2 shown]
	s_waitcnt vmcnt(2)
	v_mov_b32_e32 v118, v35
	s_waitcnt vmcnt(1)
	v_pk_mul_f32 v[122:123], v[64:65], v[28:29] op_sel:[1,0] op_sel_hi:[0,1]
	s_waitcnt vmcnt(0) lgkmcnt(1)
	v_pk_mul_f32 v[128:129], v[68:69], v[94:95] op_sel:[1,0] op_sel_hi:[0,1]
	v_pk_fma_f32 v[102:103], v[44:45], v[102:103], v[78:79] op_sel:[0,0,1] op_sel_hi:[1,1,0]
	v_pk_fma_f32 v[44:45], v[44:45], v[40:41], v[78:79] op_sel:[0,1,1] op_sel_hi:[1,1,0] neg_lo:[1,0,0] neg_hi:[1,0,0]
	v_pk_mul_f32 v[78:79], v[52:53], v[104:105] op_sel_hi:[1,0]
	v_pk_fma_f32 v[104:105], v[62:63], v[36:37], v[106:107] op_sel:[1,0,0] op_sel_hi:[0,1,1]
	v_pk_fma_f32 v[62:63], v[62:63], v[36:37], v[106:107] op_sel:[1,0,0] op_sel_hi:[0,0,1] neg_lo:[0,0,1] neg_hi:[0,0,1]
	s_waitcnt lgkmcnt(0)
	v_pk_mul_f32 v[106:107], v[98:99], v[108:109] op_sel_hi:[1,0]
	v_mov_b32_e32 v114, v33
	v_pk_mul_f32 v[116:117], v[54:55], v[34:35]
	v_pk_mul_f32 v[54:55], v[54:55], v[118:119]
	v_mov_b32_e32 v118, v122
	v_mov_b32_e32 v119, v128
	;; [unrolled: 1-line block ×3, first 2 shown]
	v_pk_fma_f32 v[122:123], v[52:53], v[42:43], v[78:79] op_sel:[0,0,1] op_sel_hi:[1,1,0] neg_lo:[0,0,1] neg_hi:[0,0,1]
	v_pk_fma_f32 v[52:53], v[52:53], v[42:43], v[78:79] op_sel:[0,0,1] op_sel_hi:[1,0,0]
	v_mov_b32_e32 v105, v63
	v_pk_fma_f32 v[62:63], v[98:99], v[38:39], v[106:107] op_sel:[0,0,1] op_sel_hi:[1,1,0] neg_lo:[0,0,1] neg_hi:[0,0,1]
	v_pk_fma_f32 v[78:79], v[98:99], v[38:39], v[106:107] op_sel:[0,0,1] op_sel_hi:[1,0,0]
	v_pk_mul_f32 v[110:111], v[66:67], v[96:97] op_sel:[0,1]
	v_pk_mul_f32 v[112:113], v[46:47], v[32:33]
	v_mov_b32_e32 v57, v28
	v_pk_mul_f32 v[46:47], v[46:47], v[114:115]
	v_mov_b32_e32 v123, v53
	v_mov_b32_e32 v63, v79
	v_pk_mul_f32 v[126:127], v[100:101], v[30:31] op_sel:[1,0] op_sel_hi:[0,1]
	v_pk_fma_f32 v[108:109], v[66:67], v[96:97], v[110:111] op_sel:[1,0,0] op_sel_hi:[0,1,1]
	v_pk_fma_f32 v[66:67], v[66:67], v[96:97], v[110:111] op_sel:[1,0,0] op_sel_hi:[0,0,1] neg_lo:[0,0,1] neg_hi:[0,0,1]
	v_pk_fma_f32 v[98:99], v[56:57], v[32:33], v[46:47]
	v_pk_add_f32 v[46:47], v[122:123], v[62:63]
	v_pk_add_f32 v[52:53], v[122:123], v[62:63] neg_lo:[0,1] neg_hi:[0,1]
	v_mov_b32_e32 v71, v30
	v_mov_b32_e32 v44, v127
	;; [unrolled: 1-line block ×3, first 2 shown]
	v_pk_fma_f32 v[46:47], v[46:47], 0.5, v[58:59] op_sel_hi:[1,0,1] neg_lo:[1,0,0] neg_hi:[1,0,0]
	v_pk_mul_f32 v[52:53], v[52:53], s[0:1] op_sel_hi:[1,0]
	v_pk_mul_f32 v[124:125], v[100:101], v[30:31]
	v_pk_mul_f32 v[110:111], v[100:101], v[70:71] op_sel:[1,0] op_sel_hi:[0,1]
	v_mov_b32_e32 v103, v45
	v_pk_fma_f32 v[70:71], v[70:71], v[34:35], v[54:55]
	v_pk_fma_f32 v[100:101], v[100:101], v[30:31], v[44:45] op_sel:[1,0,0] op_sel_hi:[0,1,1]
	v_pk_add_f32 v[44:45], v[58:59], v[122:123]
	v_pk_add_f32 v[54:55], v[46:47], v[52:53] op_sel:[0,1] op_sel_hi:[1,0]
	v_pk_add_f32 v[58:59], v[46:47], v[52:53] op_sel:[0,1] op_sel_hi:[1,0] neg_lo:[0,1] neg_hi:[0,1]
	v_pk_add_f32 v[46:47], v[104:105], v[108:109]
	v_pk_add_f32 v[52:53], v[104:105], v[108:109] neg_lo:[0,1] neg_hi:[0,1]
	v_pk_fma_f32 v[46:47], v[46:47], 0.5, v[102:103] op_sel_hi:[1,0,1] neg_lo:[1,0,0] neg_hi:[1,0,0]
	v_pk_mul_f32 v[52:53], v[52:53], s[0:1] op_sel_hi:[1,0]
	v_pk_mul_f32 v[120:121], v[64:65], v[28:29]
	v_pk_mul_f32 v[64:65], v[64:65], v[56:57] op_sel:[1,0] op_sel_hi:[0,1]
	v_mov_b32_e32 v56, v54
	v_mov_b32_e32 v57, v59
	;; [unrolled: 1-line block ×3, first 2 shown]
	v_pk_add_f32 v[54:55], v[52:53], v[46:47] op_sel:[1,0] op_sel_hi:[0,1]
	v_pk_add_f32 v[46:47], v[46:47], v[52:53] op_sel:[0,1] op_sel_hi:[1,0] neg_lo:[0,1] neg_hi:[0,1]
	v_mov_b32_e32 v124, v117
	v_mov_b32_e32 v110, v116
	v_pk_add_f32 v[66:67], v[102:103], v[104:105]
	v_mov_b32_e32 v52, v54
	v_mov_b32_e32 v53, v47
	v_pk_mul_f32 v[54:55], v[54:55], s[6:7] op_sel:[1,0]
	s_mov_b32 s1, s6
	v_mov_b32_e32 v126, v95
	v_pk_add_f32 v[78:79], v[110:111], v[124:125] neg_lo:[0,1] neg_hi:[0,1]
	v_pk_add_f32 v[62:63], v[44:45], v[62:63]
	v_pk_add_f32 v[66:67], v[66:67], v[108:109]
	v_pk_fma_f32 v[102:103], v[46:47], s[0:1], v[54:55]
	v_pk_fma_f32 v[46:47], v[46:47], s[0:1], v[54:55] op_sel_hi:[0,1,1] neg_lo:[0,0,1] neg_hi:[0,0,1]
	v_pk_mul_f32 v[54:55], v[52:53], 0.5 op_sel_hi:[1,0]
	v_mov_b32_e32 v120, v113
	v_pk_mul_f32 v[114:115], v[68:69], v[126:127] op_sel:[1,0] op_sel_hi:[0,1]
	v_mov_b32_e32 v64, v112
	v_pk_add_f32 v[44:45], v[62:63], v[66:67] op_sel:[0,1] op_sel_hi:[1,0]
	v_pk_fma_f32 v[104:105], v[52:53], s[16:17], v[54:55] op_sel:[0,0,1] op_sel_hi:[1,1,0] neg_lo:[0,0,1] neg_hi:[0,0,1]
	v_pk_add_f32 v[54:55], v[62:63], v[66:67] op_sel:[0,1] op_sel_hi:[1,0] neg_lo:[0,1] neg_hi:[0,1]
	v_mov_b32_e32 v62, v79
	v_pk_fma_f32 v[68:69], v[68:69], v[94:95], v[114:115] neg_lo:[0,0,1] neg_hi:[0,0,1]
	v_pk_add_f32 v[64:65], v[64:65], v[120:121] neg_lo:[0,1] neg_hi:[0,1]
	v_pk_add_f32 v[62:63], v[78:79], v[62:63]
	v_pk_add_f32 v[106:107], v[118:119], v[128:129]
	v_mov_b32_e32 v103, v47
	v_add_f32_e32 v63, v65, v68
	v_pk_add_f32 v[46:47], v[56:57], v[102:103]
	v_pk_add_f32 v[56:57], v[56:57], v[102:103] neg_lo:[0,1] neg_hi:[0,1]
	v_mov_b32_e32 v102, v65
	v_fma_f32 v112, -0.5, v63, v64
	v_sub_f32_e32 v63, v106, v107
	v_pk_add_f32 v[102:103], v[64:65], v[102:103]
	v_fmamk_f32 v64, v63, 0x3f5db3d7, v112
	v_fmac_f32_e32 v112, 0xbf5db3d7, v63
	v_add_f32_e32 v63, v106, v107
	v_pk_add_f32 v[52:53], v[58:59], v[104:105]
	v_pk_add_f32 v[58:59], v[58:59], v[104:105] neg_lo:[0,1] neg_hi:[0,1]
	v_pk_add_f32 v[104:105], v[98:99], v[106:107]
	v_fmac_f32_e32 v98, -0.5, v63
	v_sub_f32_e32 v63, v65, v68
	v_pk_add_f32 v[66:67], v[70:71], v[100:101]
	v_fmamk_f32 v106, v63, 0xbf5db3d7, v98
	v_fmac_f32_e32 v98, 0x3f5db3d7, v63
	v_mov_b32_e32 v63, v70
	v_pk_add_f32 v[110:111], v[60:61], v[62:63]
	v_mov_b32_e32 v63, v66
	v_mov_b32_e32 v71, v78
	;; [unrolled: 1-line block ×3, first 2 shown]
	v_pk_add_f32 v[108:109], v[60:61], v[78:79]
	v_pk_fma_f32 v[60:61], v[62:63], 0.5, v[60:61] op_sel_hi:[1,0,1] neg_lo:[1,0,0] neg_hi:[1,0,0]
	v_pk_add_f32 v[62:63], v[70:71], v[100:101] neg_lo:[0,1] neg_hi:[0,1]
	v_mov_b32_e32 v103, v104
	v_pk_fma_f32 v[66:67], v[62:63], s[0:1], v[60:61] op_sel_hi:[1,0,1]
	v_pk_fma_f32 v[70:71], v[62:63], s[0:1], v[60:61] op_sel_hi:[1,0,1] neg_lo:[1,0,0] neg_hi:[1,0,0]
	v_mov_b32_e32 v69, v107
	v_pk_mul_f32 v[60:61], v[64:65], s[6:7] op_sel_hi:[0,1]
	v_mov_b32_e32 v99, v112
	v_mov_b32_e32 v109, v111
	;; [unrolled: 1-line block ×7, first 2 shown]
	v_pk_add_f32 v[66:67], v[102:103], v[68:69]
	v_pk_fma_f32 v[68:69], v[106:107], s[0:1], v[60:61]
	v_pk_fma_f32 v[60:61], v[106:107], s[0:1], v[60:61] op_sel_hi:[0,1,1] neg_lo:[0,0,1] neg_hi:[0,0,1]
	v_pk_mul_f32 v[64:65], v[98:99], 0.5 op_sel_hi:[1,0]
	v_pk_add_f32 v[108:109], v[108:109], v[110:111]
	v_mov_b32_e32 v69, v61
	v_pk_fma_f32 v[98:99], v[98:99], s[16:17], v[64:65] op_sel:[0,0,1] op_sel_hi:[1,1,0] neg_lo:[0,0,1] neg_hi:[0,0,1]
	v_pk_add_f32 v[60:61], v[108:109], v[66:67]
	v_pk_add_f32 v[62:63], v[78:79], v[68:69]
	;; [unrolled: 1-line block ×3, first 2 shown]
	v_pk_add_f32 v[66:67], v[108:109], v[66:67] neg_lo:[0,1] neg_hi:[0,1]
	v_pk_add_f32 v[68:69], v[78:79], v[68:69] neg_lo:[0,1] neg_hi:[0,1]
	;; [unrolled: 1-line block ×3, first 2 shown]
	ds_write2_b64 v75, v[44:45], v[60:61] offset1:119
	ds_write2_b64 v77, v[46:47], v[62:63] offset0:110 offset1:229
	ds_write2_b64 v90, v[52:53], v[64:65] offset0:92 offset1:211
	;; [unrolled: 1-line block ×5, first 2 shown]
	s_waitcnt lgkmcnt(0)
	s_barrier
	s_and_saveexec_b64 s[0:1], s[4:5]
	s_cbranch_execz .LBB0_13
; %bb.12:
	v_mov_b32_e32 v73, 0
	v_lshl_add_u64 v[78:79], s[12:13], 0, v[72:73]
	v_add_co_u32_e32 v100, vcc, 0x2000, v78
	ds_read_b64 v[98:99], v75
	s_nop 0
	v_addc_co_u32_e32 v101, vcc, 0, v79, vcc
	global_load_dwordx2 v[100:101], v[100:101], off offset:3232
	s_mov_b64 s[6:7], 0x2ca0
	v_lshl_add_u64 v[102:103], v[78:79], 0, s[6:7]
	s_movk_i32 s6, 0x3000
	s_waitcnt vmcnt(0) lgkmcnt(0)
	v_mul_f32_e32 v73, v99, v101
	v_mul_f32_e32 v105, v98, v101
	v_fma_f32 v104, v98, v100, -v73
	v_fmac_f32_e32 v105, v99, v100
	ds_write_b64 v75, v[104:105]
	global_load_dwordx2 v[104:105], v[102:103], off offset:672
	ds_read2_b64 v[98:101], v72 offset0:84 offset1:168
	s_waitcnt vmcnt(0) lgkmcnt(0)
	v_mul_f32_e32 v73, v99, v105
	v_mul_f32_e32 v107, v98, v105
	v_fma_f32 v106, v98, v104, -v73
	v_fmac_f32_e32 v107, v99, v104
	global_load_dwordx2 v[98:99], v[102:103], off offset:1344
	s_waitcnt vmcnt(0)
	v_mul_f32_e32 v73, v101, v99
	v_mul_f32_e32 v105, v100, v99
	v_fma_f32 v104, v100, v98, -v73
	v_fmac_f32_e32 v105, v101, v98
	ds_write2_b64 v72, v[106:107], v[104:105] offset0:84 offset1:168
	global_load_dwordx2 v[104:105], v[102:103], off offset:2016
	v_add_u32_e32 v73, 0x400, v72
	ds_read2_b64 v[98:101], v73 offset0:124 offset1:208
	s_waitcnt vmcnt(0) lgkmcnt(0)
	v_mul_f32_e32 v76, v99, v105
	v_mul_f32_e32 v107, v98, v105
	v_fma_f32 v106, v98, v104, -v76
	v_fmac_f32_e32 v107, v99, v104
	global_load_dwordx2 v[98:99], v[102:103], off offset:2688
	s_waitcnt vmcnt(0)
	v_mul_f32_e32 v76, v101, v99
	v_mul_f32_e32 v105, v100, v99
	v_fma_f32 v104, v100, v98, -v76
	v_fmac_f32_e32 v105, v101, v98
	ds_write2_b64 v73, v[106:107], v[104:105] offset0:124 offset1:208
	global_load_dwordx2 v[104:105], v[102:103], off offset:3360
	v_add_u32_e32 v73, 0x800, v72
	ds_read2_b64 v[98:101], v73 offset0:164 offset1:248
	s_waitcnt vmcnt(0) lgkmcnt(0)
	v_mul_f32_e32 v76, v99, v105
	v_mul_f32_e32 v107, v98, v105
	v_fma_f32 v106, v98, v104, -v76
	v_fmac_f32_e32 v107, v99, v104
	global_load_dwordx2 v[98:99], v[102:103], off offset:4032
	s_waitcnt vmcnt(0)
	v_mul_f32_e32 v76, v101, v99
	v_mul_f32_e32 v103, v100, v99
	v_fma_f32 v102, v100, v98, -v76
	v_fmac_f32_e32 v103, v101, v98
	ds_write2_b64 v73, v[106:107], v[102:103] offset0:164 offset1:248
	v_add_co_u32_e32 v102, vcc, s6, v78
	v_add_u32_e32 v73, 0x1000, v72
	s_nop 0
	v_addc_co_u32_e32 v103, vcc, 0, v79, vcc
	global_load_dwordx2 v[102:103], v[102:103], off offset:3840
	ds_read2_b64 v[98:101], v73 offset0:76 offset1:160
	s_movk_i32 s6, 0x4000
	s_waitcnt vmcnt(0) lgkmcnt(0)
	v_mul_f32_e32 v76, v99, v103
	v_mul_f32_e32 v105, v98, v103
	v_fma_f32 v104, v98, v102, -v76
	v_fmac_f32_e32 v105, v99, v102
	v_add_co_u32_e32 v102, vcc, s6, v78
	s_movk_i32 s6, 0x5000
	s_nop 0
	v_addc_co_u32_e32 v103, vcc, 0, v79, vcc
	global_load_dwordx2 v[98:99], v[102:103], off offset:416
	v_add_co_u32_e32 v78, vcc, s6, v78
	s_waitcnt vmcnt(0)
	v_mul_f32_e32 v76, v101, v99
	v_mul_f32_e32 v107, v100, v99
	v_fma_f32 v106, v100, v98, -v76
	v_fmac_f32_e32 v107, v101, v98
	ds_write2_b64 v73, v[104:105], v[106:107] offset0:76 offset1:160
	global_load_dwordx2 v[104:105], v[102:103], off offset:1088
	v_add_u32_e32 v73, 0x1400, v72
	ds_read2_b64 v[98:101], v73 offset0:116 offset1:200
	v_addc_co_u32_e32 v79, vcc, 0, v79, vcc
	s_waitcnt vmcnt(0) lgkmcnt(0)
	v_mul_f32_e32 v76, v99, v105
	v_mul_f32_e32 v107, v98, v105
	v_fma_f32 v106, v98, v104, -v76
	v_fmac_f32_e32 v107, v99, v104
	global_load_dwordx2 v[98:99], v[102:103], off offset:1760
	s_waitcnt vmcnt(0)
	v_mul_f32_e32 v76, v101, v99
	v_mul_f32_e32 v105, v100, v99
	v_fma_f32 v104, v100, v98, -v76
	v_fmac_f32_e32 v105, v101, v98
	ds_write2_b64 v73, v[106:107], v[104:105] offset0:116 offset1:200
	global_load_dwordx2 v[104:105], v[102:103], off offset:2432
	v_add_u32_e32 v73, 0x1800, v72
	ds_read2_b64 v[98:101], v73 offset0:156 offset1:240
	s_waitcnt vmcnt(0) lgkmcnt(0)
	v_mul_f32_e32 v76, v99, v105
	v_mul_f32_e32 v107, v98, v105
	v_fma_f32 v106, v98, v104, -v76
	v_fmac_f32_e32 v107, v99, v104
	global_load_dwordx2 v[98:99], v[102:103], off offset:3104
	s_waitcnt vmcnt(0)
	v_mul_f32_e32 v76, v101, v99
	global_load_dwordx2 v[102:103], v[102:103], off offset:3776
	v_mul_f32_e32 v105, v100, v99
	v_fma_f32 v104, v100, v98, -v76
	v_fmac_f32_e32 v105, v101, v98
	ds_write2_b64 v73, v[106:107], v[104:105] offset0:156 offset1:240
	v_add_u32_e32 v73, 0x2000, v72
	ds_read2_b64 v[98:101], v73 offset0:68 offset1:152
	s_waitcnt vmcnt(0) lgkmcnt(0)
	v_mul_f32_e32 v76, v99, v103
	v_mul_f32_e32 v105, v98, v103
	v_fma_f32 v104, v98, v102, -v76
	v_fmac_f32_e32 v105, v99, v102
	global_load_dwordx2 v[98:99], v[78:79], off offset:352
	s_waitcnt vmcnt(0)
	v_mul_f32_e32 v76, v101, v99
	v_mul_f32_e32 v103, v100, v99
	v_fma_f32 v102, v100, v98, -v76
	v_fmac_f32_e32 v103, v101, v98
	ds_write2_b64 v73, v[104:105], v[102:103] offset0:68 offset1:152
	global_load_dwordx2 v[102:103], v[78:79], off offset:1024
	v_add_u32_e32 v73, 0x2400, v72
	global_load_dwordx2 v[78:79], v[78:79], off offset:1696
	ds_read2_b64 v[98:101], v73 offset0:108 offset1:192
	s_waitcnt vmcnt(1) lgkmcnt(0)
	v_mul_f32_e32 v76, v99, v103
	v_mul_f32_e32 v105, v98, v103
	v_fma_f32 v104, v98, v102, -v76
	v_fmac_f32_e32 v105, v99, v102
	s_waitcnt vmcnt(0)
	v_mul_f32_e32 v76, v101, v79
	v_mul_f32_e32 v99, v100, v79
	v_fma_f32 v98, v100, v78, -v76
	v_fmac_f32_e32 v99, v101, v78
	ds_write2_b64 v73, v[104:105], v[98:99] offset0:108 offset1:192
.LBB0_13:
	s_or_b64 exec, exec, s[0:1]
	s_waitcnt lgkmcnt(0)
	s_barrier
	s_and_saveexec_b64 s[0:1], s[4:5]
	s_cbranch_execz .LBB0_15
; %bb.14:
	v_add_u32_e32 v12, 0x800, v75
	ds_read2_b64 v[44:47], v75 offset1:84
	ds_read2_b64 v[52:55], v75 offset0:168 offset1:252
	ds_read2_b64 v[56:59], v12 offset0:80 offset1:164
	v_add_u32_e32 v12, 0xc00, v75
	ds_read2_b64 v[60:63], v12 offset0:120 offset1:204
	v_add_u32_e32 v12, 0x1000, v75
	;; [unrolled: 2-line block ×5, first 2 shown]
	ds_read2_b64 v[12:15], v12 offset0:152 offset1:236
	ds_read_b64 v[244:245], v75 offset:10752
.LBB0_15:
	s_or_b64 exec, exec, s[0:1]
	s_waitcnt lgkmcnt(1)
	v_pk_add_f32 v[78:79], v[52:53], v[14:15] neg_lo:[0,1] neg_hi:[0,1]
	v_pk_add_f32 v[128:129], v[52:53], v[14:15]
	v_mov_b32_e32 v111, v78
	v_mov_b32_e32 v110, v128
	v_mov_b32_e32 v128, v79
	v_pk_add_f32 v[78:79], v[54:55], v[12:13] neg_lo:[0,1] neg_hi:[0,1]
	v_pk_add_f32 v[130:131], v[54:55], v[12:13]
	v_mov_b32_e32 v113, v78
	v_mov_b32_e32 v112, v130
	v_mov_b32_e32 v130, v79
	v_pk_add_f32 v[78:79], v[56:57], v[50:51] neg_lo:[0,1] neg_hi:[0,1]
	v_pk_add_f32 v[132:133], v[56:57], v[50:51]
	v_mov_b32_e32 v115, v78
	v_mov_b32_e32 v114, v132
	v_mov_b32_e32 v132, v79
	v_pk_add_f32 v[78:79], v[58:59], v[48:49] neg_lo:[0,1] neg_hi:[0,1]
	v_pk_add_f32 v[134:135], v[58:59], v[48:49]
	v_mov_b32_e32 v117, v78
	v_mov_b32_e32 v116, v134
	v_mov_b32_e32 v134, v79
	v_pk_add_f32 v[78:79], v[60:61], v[70:71] neg_lo:[0,1] neg_hi:[0,1]
	v_pk_add_f32 v[136:137], v[60:61], v[70:71]
	v_mov_b32_e32 v119, v78
	v_mov_b32_e32 v118, v136
	v_mov_b32_e32 v136, v79
	v_pk_add_f32 v[78:79], v[62:63], v[68:69] neg_lo:[0,1] neg_hi:[0,1]
	v_pk_add_f32 v[138:139], v[62:63], v[68:69]
	s_waitcnt lgkmcnt(0)
	v_pk_add_f32 v[124:125], v[244:245], v[46:47]
	v_pk_add_f32 v[126:127], v[46:47], v[244:245] neg_lo:[0,1] neg_hi:[0,1]
	v_mov_b32_e32 v120, v138
	v_mov_b32_e32 v121, v78
	;; [unrolled: 1-line block ×3, first 2 shown]
	v_pk_add_f32 v[78:79], v[64:65], v[66:67] neg_lo:[0,1] neg_hi:[0,1]
	v_pk_add_f32 v[140:141], v[64:65], v[66:67]
	s_mov_b32 s48, 0xbf7ee86f
	v_mov_b32_e32 v122, v140
	v_mov_b32_e32 v123, v78
	;; [unrolled: 1-line block ×5, first 2 shown]
	s_mov_b32 s49, 0x3dbcf732
	s_mov_b32 s44, 0xbe3c28d5
	v_pk_mul_f32 v[190:191], v[78:79], s[48:49]
	v_mov_b32_e32 v144, v124
	v_mov_b32_e32 v145, v126
	s_mov_b32 s6, s49
	s_mov_b32 s7, s48
	;; [unrolled: 1-line block ×3, first 2 shown]
	v_pk_fma_f32 v[98:99], v[144:145], s[6:7], v[190:191] neg_lo:[0,0,1] neg_hi:[0,0,1]
	v_pk_fma_f32 v[200:201], v[144:145], s[6:7], v[190:191]
	v_pk_mul_f32 v[210:211], v[128:129], s[44:45]
	s_mov_b32 s0, s45
	s_mov_b32 s1, s44
	;; [unrolled: 1-line block ×3, first 2 shown]
	v_mov_b32_e32 v99, v201
	v_pk_fma_f32 v[100:101], v[110:111], s[0:1], v[210:211] neg_lo:[0,0,1] neg_hi:[0,0,1]
	v_pk_fma_f32 v[212:213], v[110:111], s[0:1], v[210:211]
	s_mov_b32 s61, 0xbe8c1d8e
	v_pk_add_f32 v[98:99], v[44:45], v[98:99]
	v_mov_b32_e32 v101, v213
	v_pk_mul_f32 v[214:215], v[130:131], s[60:61]
	s_mov_b32 s18, s61
	s_mov_b32 s19, s60
	s_mov_b32 s46, 0x3eb8f4ab
	v_pk_add_f32 v[98:99], v[100:101], v[98:99]
	v_pk_fma_f32 v[100:101], v[112:113], s[18:19], v[214:215] neg_lo:[0,0,1] neg_hi:[0,0,1]
	v_pk_fma_f32 v[216:217], v[112:113], s[18:19], v[214:215]
	s_mov_b32 s47, 0x3f6eb680
	v_mov_b32_e32 v101, v217
	v_pk_mul_f32 v[218:219], v[132:133], s[46:47]
	s_mov_b32 s22, s47
	s_mov_b32 s23, s46
	s_mov_b32 s66, 0xbf65296c
	v_pk_add_f32 v[98:99], v[100:101], v[98:99]
	v_pk_fma_f32 v[100:101], v[114:115], s[22:23], v[218:219] neg_lo:[0,0,1] neg_hi:[0,0,1]
	v_pk_fma_f32 v[220:221], v[114:115], s[22:23], v[218:219]
	s_mov_b32 s67, 0x3ee437d1
	;; [unrolled: 9-line block ×5, first 2 shown]
	v_mov_b32_e32 v101, v233
	v_pk_mul_f32 v[234:235], v[140:141], s[52:53]
	s_mov_b32 s34, s53
	s_mov_b32 s35, s52
	;; [unrolled: 1-line block ×4, first 2 shown]
	v_pk_add_f32 v[98:99], v[100:101], v[98:99]
	v_pk_fma_f32 v[100:101], v[122:123], s[34:35], v[234:235] neg_lo:[0,0,1] neg_hi:[0,0,1]
	v_pk_fma_f32 v[236:237], v[122:123], s[34:35], v[234:235]
	v_pk_mul_f32 v[238:239], v[78:79], s[56:57]
	s_mov_b32 s24, s61
	s_mov_b32 s25, s56
	;; [unrolled: 1-line block ×4, first 2 shown]
	v_mov_b32_e32 v101, v237
	v_pk_fma_f32 v[78:79], v[144:145], s[24:25], v[238:239] neg_lo:[0,0,1] neg_hi:[0,0,1]
	v_pk_fma_f32 v[240:241], v[144:145], s[24:25], v[238:239]
	v_pk_mul_f32 v[242:243], v[128:129], s[54:55]
	s_mov_b32 s26, s51
	s_mov_b32 s27, s54
	v_pk_add_f32 v[98:99], v[100:101], v[98:99]
	v_mov_b32_e32 v79, v241
	v_pk_fma_f32 v[100:101], v[110:111], s[26:27], v[242:243] neg_lo:[0,0,1] neg_hi:[0,0,1]
	v_mov_b64_e32 v[76:77], v[244:245]
	v_pk_fma_f32 v[244:245], v[110:111], s[26:27], v[242:243]
	v_pk_add_f32 v[78:79], v[44:45], v[78:79]
	v_mov_b32_e32 v101, v245
	v_pk_mul_f32 v[248:249], v[130:131], s[52:53]
	v_pk_add_f32 v[78:79], v[100:101], v[78:79]
	v_pk_fma_f32 v[100:101], v[112:113], s[34:35], v[248:249] neg_lo:[0,0,1] neg_hi:[0,0,1]
	v_pk_fma_f32 v[246:247], v[112:113], s[34:35], v[248:249]
	v_pk_mul_f32 v[252:253], v[132:133], s[66:67]
	v_mov_b32_e32 v101, v247
	v_pk_add_f32 v[78:79], v[100:101], v[78:79]
	v_pk_fma_f32 v[100:101], v[114:115], s[20:21], v[252:253] neg_lo:[0,0,1] neg_hi:[0,0,1]
	v_pk_fma_f32 v[250:251], v[114:115], s[20:21], v[252:253]
	s_mov_b32 s62, 0x3f7ee86f
	v_mov_b32_e32 v101, v251
	v_pk_add_f32 v[100:101], v[100:101], v[78:79]
	v_pk_mul_f32 v[78:79], v[134:135], s[44:45]
	s_mov_b32 s63, s49
	v_pk_fma_f32 v[142:143], v[116:117], s[0:1], v[78:79] neg_lo:[0,0,1] neg_hi:[0,0,1]
	v_pk_fma_f32 v[254:255], v[116:117], s[0:1], v[78:79]
	s_mov_b32 s42, s49
	v_mov_b32_e32 v143, v255
	v_pk_add_f32 v[100:101], v[142:143], v[100:101]
	v_pk_mul_f32 v[142:143], v[136:137], s[62:63]
	s_mov_b32 s43, s62
	v_pk_fma_f32 v[148:149], v[118:119], s[42:43], v[142:143] neg_lo:[0,0,1] neg_hi:[0,0,1]
	v_pk_fma_f32 v[146:147], v[118:119], s[42:43], v[142:143]
	s_mov_b32 s68, 0xbeb8f4ab
	s_mov_b32 s69, s47
	v_mov_b32_e32 v149, v147
	v_pk_mul_f32 v[150:151], v[138:139], s[68:69]
	s_mov_b32 s36, s47
	s_mov_b32 s37, s68
	v_pk_add_f32 v[100:101], v[148:149], v[100:101]
	v_pk_fma_f32 v[148:149], v[120:121], s[36:37], v[150:151] neg_lo:[0,0,1] neg_hi:[0,0,1]
	v_pk_fma_f32 v[154:155], v[120:121], s[36:37], v[150:151]
	s_mov_b32 s64, 0xbf4c4adb
	s_mov_b32 s65, s59
	v_mov_b32_e32 v149, v155
	v_pk_mul_f32 v[158:159], v[140:141], s[64:65]
	s_mov_b32 s30, s59
	s_mov_b32 s31, s64
	v_pk_add_f32 v[100:101], v[148:149], v[100:101]
	v_pk_fma_f32 v[148:149], v[122:123], s[30:31], v[158:159] neg_lo:[0,0,1] neg_hi:[0,0,1]
	v_pk_fma_f32 v[162:163], v[122:123], s[30:31], v[158:159]
	v_mov_b32_e32 v108, v92
	v_mov_b32_e32 v149, v163
	;; [unrolled: 1-line block ×13, first 2 shown]
	v_pk_add_f32 v[100:101], v[148:149], v[100:101]
	s_barrier
	s_and_saveexec_b64 s[28:29], s[4:5]
	s_cbranch_execz .LBB0_17
; %bb.16:
	v_pk_add_f32 v[46:47], v[46:47], v[44:45]
	v_pk_mul_f32 v[148:149], v[144:145], s[6:7]
	v_pk_add_f32 v[46:47], v[52:53], v[46:47]
	v_pk_mul_f32 v[178:179], v[144:145], s[24:25]
	v_pk_add_f32 v[46:47], v[54:55], v[46:47]
	s_mov_b32 s40, s47
	v_pk_add_f32 v[46:47], v[56:57], v[46:47]
	v_pk_mul_f32 v[144:145], v[126:127], s[68:69] op_sel_hi:[1,0]
	v_pk_add_f32 v[46:47], v[58:59], v[46:47]
	s_mov_b32 s73, s53
	v_pk_add_f32 v[46:47], v[60:61], v[46:47]
	v_lshlrev_b32_e32 v73, 3, v172
	v_pk_add_f32 v[46:47], v[62:63], v[46:47]
	s_mov_b32 s70, s53
	v_pk_add_f32 v[46:47], v[64:65], v[46:47]
	v_pk_mul_f32 v[172:173], v[140:141], s[46:47]
	v_pk_add_f32 v[46:47], v[66:67], v[46:47]
	v_pk_mul_f32 v[66:67], v[140:141], s[44:45]
	;; [unrolled: 2-line block ×5, first 2 shown]
	v_pk_add_f32 v[46:47], v[50:51], v[46:47]
	v_pk_fma_f32 v[62:63], v[110:111], s[30:31], v[180:181]
	v_pk_add_f32 v[12:13], v[12:13], v[46:47]
	v_pk_fma_f32 v[46:47], v[124:125], s[40:41], v[144:145] op_sel:[0,0,1] op_sel_hi:[1,0,0]
	v_pk_add_f32 v[12:13], v[14:15], v[12:13]
	v_pk_fma_f32 v[14:15], v[124:125], s[40:41], v[144:145] op_sel:[0,0,1] op_sel_hi:[1,0,0] neg_lo:[0,0,1] neg_hi:[0,0,1]
	s_mov_b32 s41, 0xbf2c7751
	s_mov_b32 s72, s41
	;; [unrolled: 1-line block ×3, first 2 shown]
	v_pk_mul_f32 v[52:53], v[128:129], s[72:73]
	v_accvgpr_write_b32 a9, v47
	v_mov_b32_e32 v47, v15
	v_pk_fma_f32 v[50:51], v[110:111], s[40:41], v[52:53]
	v_pk_fma_f32 v[48:49], v[110:111], s[40:41], v[52:53] neg_lo:[1,0,0] neg_hi:[1,0,0]
	v_accvgpr_write_b32 a14, v52
	v_pk_add_f32 v[46:47], v[44:45], v[46:47]
	v_accvgpr_write_b32 a15, v53
	v_mov_b32_e32 v48, v50
	v_pk_mul_f32 v[52:53], v[130:131], s[66:67]
	v_accvgpr_write_b32 a11, v51
	v_pk_add_f32 v[46:47], v[48:49], v[46:47]
	v_pk_fma_f32 v[50:51], v[112:113], s[20:21], v[52:53]
	v_pk_fma_f32 v[48:49], v[112:113], s[20:21], v[52:53] neg_lo:[1,0,0] neg_hi:[1,0,0]
	v_accvgpr_write_b32 a18, v52
	v_accvgpr_write_b32 a19, v53
	v_mov_b32_e32 v48, v50
	v_pk_mul_f32 v[52:53], v[132:133], s[48:49]
	v_accvgpr_write_b32 a13, v51
	v_pk_add_f32 v[46:47], v[48:49], v[46:47]
	v_pk_fma_f32 v[50:51], v[114:115], s[6:7], v[52:53]
	v_pk_fma_f32 v[48:49], v[114:115], s[6:7], v[52:53] neg_lo:[1,0,0] neg_hi:[1,0,0]
	v_accvgpr_write_b32 a22, v52
	;; [unrolled: 8-line block ×3, first 2 shown]
	v_mov_b32_e32 v48, v50
	v_pk_add_f32 v[46:47], v[48:49], v[46:47]
	v_pk_fma_f32 v[50:51], v[118:119], s[30:31], v[70:71]
	v_pk_fma_f32 v[48:49], v[118:119], s[30:31], v[70:71] neg_lo:[1,0,0] neg_hi:[1,0,0]
	v_accvgpr_write_b32 a25, v51
	v_mov_b32_e32 v48, v50
	v_pk_add_f32 v[46:47], v[48:49], v[46:47]
	v_pk_fma_f32 v[50:51], v[120:121], s[16:17], v[68:69]
	v_pk_fma_f32 v[48:49], v[120:121], s[16:17], v[68:69] neg_lo:[1,0,0] neg_hi:[1,0,0]
	v_accvgpr_write_b32 a29, v51
	v_mov_b32_e32 v48, v50
	v_pk_add_f32 v[46:47], v[48:49], v[46:47]
	v_pk_fma_f32 v[50:51], v[122:123], s[0:1], v[66:67]
	v_pk_fma_f32 v[48:49], v[122:123], s[0:1], v[66:67] neg_lo:[1,0,0] neg_hi:[1,0,0]
	v_pk_add_f32 v[12:13], v[76:77], v[12:13]
	v_mov_b32_e32 v48, v50
	v_pk_add_f32 v[46:47], v[48:49], v[46:47]
	s_mov_b32 s74, s41
	v_accvgpr_write_b32 a26, v52
	ds_write2_b64 v73, v[12:13], v[46:47] offset1:1
	v_pk_mul_f32 v[12:13], v[126:127], s[74:75] op_sel_hi:[1,0]
	v_accvgpr_write_b32 a27, v53
	v_pk_fma_f32 v[46:47], v[124:125], s[70:71], v[12:13] op_sel:[0,0,1] op_sel_hi:[1,0,0]
	v_pk_fma_f32 v[144:145], v[124:125], s[70:71], v[12:13] op_sel:[0,0,1] op_sel_hi:[1,0,0] neg_lo:[0,0,1] neg_hi:[0,0,1]
	v_pk_mul_f32 v[52:53], v[128:129], s[48:49]
	v_mov_b32_e32 v12, v46
	v_mov_b32_e32 v15, v47
	;; [unrolled: 1-line block ×3, first 2 shown]
	v_pk_fma_f32 v[48:49], v[110:111], s[6:7], v[52:53]
	v_pk_fma_f32 v[46:47], v[110:111], s[6:7], v[52:53] neg_lo:[1,0,0] neg_hi:[1,0,0]
	v_accvgpr_write_b32 a31, v51
	v_pk_add_f32 v[12:13], v[44:45], v[12:13]
	v_mov_b32_e32 v46, v48
	v_pk_mul_f32 v[50:51], v[130:131], s[64:65]
	v_accvgpr_write_b32 a33, v49
	v_pk_add_f32 v[12:13], v[46:47], v[12:13]
	v_pk_fma_f32 v[48:49], v[112:113], s[30:31], v[50:51]
	v_pk_fma_f32 v[46:47], v[112:113], s[30:31], v[50:51] neg_lo:[1,0,0] neg_hi:[1,0,0]
	v_accvgpr_write_b32 a35, v49
	v_mov_b32_e32 v46, v48
	v_pk_mul_f32 v[48:49], v[132:133], s[44:45]
	v_pk_add_f32 v[12:13], v[46:47], v[12:13]
	v_pk_fma_f32 v[54:55], v[114:115], s[0:1], v[48:49]
	v_pk_fma_f32 v[46:47], v[114:115], s[0:1], v[48:49] neg_lo:[1,0,0] neg_hi:[1,0,0]
	v_accvgpr_write_b32 a37, v55
	v_mov_b32_e32 v46, v54
	v_pk_add_f32 v[12:13], v[46:47], v[12:13]
	v_pk_mul_f32 v[46:47], v[134:135], s[54:55]
	s_mov_b32 s55, 0x3f65296c
	v_pk_fma_f32 v[56:57], v[116:117], s[26:27], v[46:47]
	v_pk_fma_f32 v[54:55], v[116:117], s[26:27], v[46:47] neg_lo:[1,0,0] neg_hi:[1,0,0]
	v_accvgpr_write_b32 a39, v57
	v_mov_b32_e32 v54, v56
	v_pk_add_f32 v[54:55], v[54:55], v[12:13]
	v_pk_mul_f32 v[12:13], v[136:137], s[60:61]
	s_mov_b32 s70, s55
	v_pk_fma_f32 v[58:59], v[118:119], s[18:19], v[12:13]
	v_pk_fma_f32 v[56:57], v[118:119], s[18:19], v[12:13] neg_lo:[1,0,0] neg_hi:[1,0,0]
	s_mov_b32 s71, s67
	v_mov_b32_e32 v56, v58
	s_mov_b32 s54, s67
	v_pk_mul_f32 v[168:169], v[138:139], s[70:71]
	v_accvgpr_write_b32 a41, v59
	v_pk_add_f32 v[54:55], v[56:57], v[54:55]
	v_pk_fma_f32 v[58:59], v[120:121], s[54:55], v[168:169]
	v_pk_fma_f32 v[56:57], v[120:121], s[54:55], v[168:169] neg_lo:[1,0,0] neg_hi:[1,0,0]
	v_accvgpr_write_b32 a43, v59
	v_mov_b32_e32 v56, v58
	v_pk_add_f32 v[54:55], v[56:57], v[54:55]
	v_pk_fma_f32 v[58:59], v[122:123], s[22:23], v[172:173]
	v_pk_fma_f32 v[56:57], v[122:123], s[22:23], v[172:173] neg_lo:[1,0,0] neg_hi:[1,0,0]
	s_mov_b32 s74, s67
	v_mov_b32_e32 v56, v58
	v_pk_add_f32 v[76:77], v[56:57], v[54:55]
	v_pk_mul_f32 v[54:55], v[126:127], s[66:67] op_sel_hi:[1,0]
	s_mov_b32 s67, 0x3e3c28d5
	v_pk_fma_f32 v[64:65], v[124:125], s[74:75], v[54:55] op_sel:[0,0,1] op_sel_hi:[1,0,0]
	v_pk_fma_f32 v[176:177], v[124:125], s[74:75], v[54:55] op_sel:[0,0,1] op_sel_hi:[1,0,0] neg_lo:[0,0,1] neg_hi:[0,0,1]
	v_mov_b32_e32 v54, v64
	v_mov_b32_e32 v55, v177
	v_pk_fma_f32 v[56:57], v[110:111], s[30:31], v[180:181] neg_lo:[1,0,0] neg_hi:[1,0,0]
	s_mov_b32 s74, s67
	s_mov_b32 s75, s45
	v_pk_add_f32 v[54:55], v[44:45], v[54:55]
	v_mov_b32_e32 v56, v62
	s_mov_b32 s66, s45
	v_pk_mul_f32 v[184:185], v[130:131], s[74:75]
	v_pk_add_f32 v[54:55], v[56:57], v[54:55]
	v_pk_fma_f32 v[60:61], v[112:113], s[66:67], v[184:185]
	v_pk_fma_f32 v[56:57], v[112:113], s[66:67], v[184:185] neg_lo:[1,0,0] neg_hi:[1,0,0]
	v_pk_mul_f32 v[188:189], v[132:133], s[60:61]
	v_accvgpr_write_b32 a45, v59
	v_mov_b32_e32 v56, v60
	v_pk_fma_f32 v[58:59], v[114:115], s[18:19], v[188:189]
	v_pk_fma_f32 v[194:195], v[114:115], s[18:19], v[188:189] neg_lo:[1,0,0] neg_hi:[1,0,0]
	v_pk_mul_f32 v[90:91], v[114:115], s[20:21]
	v_pk_add_f32 v[54:55], v[56:57], v[54:55]
	v_mov_b32_e32 v194, v58
	v_accvgpr_write_b32 a54, v90
	v_pk_add_f32 v[196:197], v[194:195], v[54:55]
	v_pk_mul_f32 v[194:195], v[134:135], s[52:53]
	v_accvgpr_write_b32 a55, v91
	v_pk_mul_f32 v[90:91], v[116:117], s[0:1]
	v_pk_fma_f32 v[56:57], v[116:117], s[34:35], v[194:195]
	v_pk_fma_f32 v[198:199], v[116:117], s[34:35], v[194:195] neg_lo:[1,0,0] neg_hi:[1,0,0]
	v_accvgpr_write_b32 a52, v90
	v_mov_b32_e32 v198, v56
	v_accvgpr_write_b32 a53, v91
	v_pk_mul_f32 v[90:91], v[118:119], s[42:43]
	v_pk_add_f32 v[202:203], v[198:199], v[196:197]
	v_pk_mul_f32 v[198:199], v[136:137], s[68:69]
	v_accvgpr_write_b32 a50, v90
	v_pk_fma_f32 v[196:197], v[118:119], s[36:37], v[198:199]
	v_pk_fma_f32 v[204:205], v[118:119], s[36:37], v[198:199] neg_lo:[1,0,0] neg_hi:[1,0,0]
	v_accvgpr_write_b32 a51, v91
	v_pk_mul_f32 v[90:91], v[120:121], s[36:37]
	v_mov_b32_e32 v204, v196
	v_accvgpr_write_b32 a48, v90
	v_pk_add_f32 v[206:207], v[204:205], v[202:203]
	v_pk_mul_f32 v[204:205], v[138:139], s[48:49]
	v_accvgpr_write_b32 a49, v91
	v_pk_mul_f32 v[90:91], v[122:123], s[30:31]
	v_pk_fma_f32 v[202:203], v[120:121], s[6:7], v[204:205]
	v_pk_fma_f32 v[208:209], v[120:121], s[6:7], v[204:205] neg_lo:[1,0,0] neg_hi:[1,0,0]
	v_accvgpr_write_b32 a46, v90
	v_mov_b32_e32 v208, v202
	v_accvgpr_write_b32 a47, v91
	v_pk_add_f32 v[90:91], v[208:209], v[206:207]
	v_pk_mul_f32 v[208:209], v[140:141], s[50:51]
	v_accvgpr_write_b32 a1, v152
	v_pk_fma_f32 v[54:55], v[122:123], s[16:17], v[208:209]
	v_pk_fma_f32 v[206:207], v[122:123], s[16:17], v[208:209] neg_lo:[1,0,0] neg_hi:[1,0,0]
	v_accvgpr_write_b32 a3, v153
	v_mov_b32_e32 v206, v54
	v_pk_mul_f32 v[152:153], v[110:111], s[0:1]
	v_pk_add_f32 v[90:91], v[206:207], v[90:91]
	v_accvgpr_write_b32 a2, v156
	v_accvgpr_write_b32 a4, v157
	v_pk_mul_f32 v[156:157], v[112:113], s[18:19]
	ds_write2_b64 v73, v[76:77], v[90:91] offset0:2 offset1:3
	v_pk_add_f32 v[90:91], v[210:211], v[152:153] neg_lo:[0,1] neg_hi:[0,1]
	v_accvgpr_write_b32 a5, v160
	v_accvgpr_write_b32 a6, v161
	v_pk_mul_f32 v[160:161], v[114:115], s[22:23]
	v_mov_b32_e32 v213, v91
	v_pk_add_f32 v[90:91], v[214:215], v[156:157] neg_lo:[0,1] neg_hi:[0,1]
	v_accvgpr_write_b32 a7, v164
	v_accvgpr_write_b32 a8, v165
	v_pk_mul_f32 v[164:165], v[116:117], s[20:21]
	v_mov_b32_e32 v217, v91
	v_pk_add_f32 v[90:91], v[218:219], v[160:161] neg_lo:[0,1] neg_hi:[0,1]
	v_pk_mul_f32 v[166:167], v[118:119], s[16:17]
	v_pk_mul_f32 v[182:183], v[110:111], s[26:27]
	v_mov_b32_e32 v221, v91
	v_pk_add_f32 v[90:91], v[222:223], v[164:165] neg_lo:[0,1] neg_hi:[0,1]
	v_pk_mul_f32 v[170:171], v[120:121], s[38:39]
	v_pk_mul_f32 v[186:187], v[112:113], s[34:35]
	v_pk_add_f32 v[76:77], v[190:191], v[148:149] neg_lo:[0,1] neg_hi:[0,1]
	v_mov_b32_e32 v225, v91
	v_pk_add_f32 v[90:91], v[226:227], v[166:167] neg_lo:[0,1] neg_hi:[0,1]
	v_pk_add_f32 v[148:149], v[242:243], v[182:183] neg_lo:[0,1] neg_hi:[0,1]
	v_pk_mul_f32 v[174:175], v[122:123], s[34:35]
	v_mov_b32_e32 v229, v91
	v_pk_add_f32 v[90:91], v[230:231], v[170:171] neg_lo:[0,1] neg_hi:[0,1]
	v_mov_b32_e32 v245, v149
	v_pk_add_f32 v[148:149], v[248:249], v[186:187] neg_lo:[0,1] neg_hi:[0,1]
	;; [unrolled: 2-line block ×3, first 2 shown]
	v_mov_b32_e32 v247, v149
	v_accvgpr_read_b32 v149, a55
	v_mov_b32_e32 v237, v91
	v_pk_add_f32 v[90:91], v[238:239], v[178:179] neg_lo:[0,1] neg_hi:[0,1]
	v_accvgpr_read_b32 v148, a54
	v_mov_b32_e32 v241, v91
	v_pk_add_f32 v[148:149], v[252:253], v[148:149] neg_lo:[0,1] neg_hi:[0,1]
	v_pk_add_f32 v[90:91], v[44:45], v[240:241]
	v_mov_b32_e32 v251, v149
	v_accvgpr_read_b32 v149, a53
	v_pk_add_f32 v[90:91], v[244:245], v[90:91]
	v_accvgpr_read_b32 v148, a52
	v_pk_add_f32 v[90:91], v[246:247], v[90:91]
	v_pk_add_f32 v[78:79], v[78:79], v[148:149] neg_lo:[0,1] neg_hi:[0,1]
	v_pk_add_f32 v[90:91], v[250:251], v[90:91]
	v_mov_b32_e32 v255, v79
	v_pk_add_f32 v[78:79], v[254:255], v[90:91]
	v_accvgpr_read_b32 v91, a51
	v_accvgpr_read_b32 v90, a50
	v_mov_b32_e32 v201, v77
	v_pk_add_f32 v[90:91], v[142:143], v[90:91] neg_lo:[0,1] neg_hi:[0,1]
	v_pk_add_f32 v[76:77], v[44:45], v[200:201]
	v_mov_b32_e32 v147, v91
	v_accvgpr_read_b32 v91, a49
	v_pk_add_f32 v[76:77], v[212:213], v[76:77]
	v_accvgpr_read_b32 v90, a48
	v_pk_add_f32 v[76:77], v[216:217], v[76:77]
	v_pk_add_f32 v[90:91], v[150:151], v[90:91] neg_lo:[0,1] neg_hi:[0,1]
	v_pk_add_f32 v[76:77], v[220:221], v[76:77]
	v_mov_b32_e32 v155, v91
	v_accvgpr_read_b32 v91, a47
	v_pk_add_f32 v[76:77], v[224:225], v[76:77]
	v_accvgpr_read_b32 v90, a46
	v_pk_add_f32 v[76:77], v[228:229], v[76:77]
	v_pk_add_f32 v[78:79], v[146:147], v[78:79]
	v_pk_add_f32 v[90:91], v[158:159], v[90:91] neg_lo:[0,1] neg_hi:[0,1]
	v_pk_add_f32 v[76:77], v[232:233], v[76:77]
	v_pk_add_f32 v[78:79], v[154:155], v[78:79]
	v_mov_b32_e32 v163, v91
	v_pk_add_f32 v[76:77], v[236:237], v[76:77]
	v_pk_add_f32 v[78:79], v[162:163], v[78:79]
	ds_write2_b64 v73, v[76:77], v[78:79] offset0:4 offset1:5
	s_mov_b32 s74, s59
	v_pk_mul_f32 v[76:77], v[126:127], s[64:65] op_sel_hi:[1,0]
	v_pk_mul_f32 v[78:79], v[128:129], s[60:61]
	v_pk_fma_f32 v[154:155], v[124:125], s[74:75], v[76:77] op_sel:[0,0,1] op_sel_hi:[1,0,0]
	v_pk_fma_f32 v[76:77], v[124:125], s[74:75], v[76:77] op_sel:[0,0,1] op_sel_hi:[1,0,0] neg_lo:[0,0,1] neg_hi:[0,0,1]
	v_mov_b32_e32 v156, v154
	v_mov_b32_e32 v157, v77
	v_pk_fma_f32 v[158:159], v[110:111], s[18:19], v[78:79]
	v_pk_fma_f32 v[160:161], v[110:111], s[18:19], v[78:79] neg_lo:[1,0,0] neg_hi:[1,0,0]
	v_pk_mul_f32 v[90:91], v[130:131], s[68:69]
	v_pk_add_f32 v[156:157], v[44:45], v[156:157]
	v_mov_b32_e32 v160, v158
	v_pk_add_f32 v[156:157], v[160:161], v[156:157]
	v_pk_fma_f32 v[160:161], v[112:113], s[36:37], v[90:91]
	v_pk_fma_f32 v[162:163], v[112:113], s[36:37], v[90:91] neg_lo:[1,0,0] neg_hi:[1,0,0]
	v_pk_mul_f32 v[142:143], v[132:133], s[50:51]
	v_mov_b32_e32 v162, v160
	v_pk_add_f32 v[156:157], v[162:163], v[156:157]
	v_pk_fma_f32 v[162:163], v[114:115], s[16:17], v[142:143]
	v_pk_fma_f32 v[164:165], v[114:115], s[16:17], v[142:143] neg_lo:[1,0,0] neg_hi:[1,0,0]
	v_pk_mul_f32 v[146:147], v[134:135], s[62:63]
	;; [unrolled: 5-line block ×5, first 2 shown]
	v_mov_b32_e32 v174, v170
	v_pk_add_f32 v[156:157], v[174:175], v[156:157]
	v_pk_fma_f32 v[174:175], v[122:123], s[54:55], v[152:153]
	v_pk_fma_f32 v[178:179], v[122:123], s[54:55], v[152:153] neg_lo:[1,0,0] neg_hi:[1,0,0]
	s_mov_b32 s60, s51
	v_mov_b32_e32 v178, v174
	v_pk_add_f32 v[156:157], v[178:179], v[156:157]
	v_pk_mul_f32 v[178:179], v[126:127], s[50:51] op_sel_hi:[1,0]
	v_pk_mul_f32 v[182:183], v[128:129], s[70:71]
	v_pk_fma_f32 v[214:215], v[124:125], s[60:61], v[178:179] op_sel:[0,0,1] op_sel_hi:[1,0,0]
	v_pk_fma_f32 v[178:179], v[124:125], s[60:61], v[178:179] op_sel:[0,0,1] op_sel_hi:[1,0,0] neg_lo:[0,0,1] neg_hi:[0,0,1]
	v_mov_b32_e32 v216, v214
	v_mov_b32_e32 v217, v179
	v_pk_fma_f32 v[218:219], v[110:111], s[54:55], v[182:183]
	v_pk_fma_f32 v[220:221], v[110:111], s[54:55], v[182:183] neg_lo:[1,0,0] neg_hi:[1,0,0]
	v_pk_mul_f32 v[186:187], v[130:131], s[48:49]
	v_pk_add_f32 v[216:217], v[44:45], v[216:217]
	v_mov_b32_e32 v220, v218
	v_pk_add_f32 v[216:217], v[220:221], v[216:217]
	v_pk_fma_f32 v[220:221], v[112:113], s[6:7], v[186:187]
	v_pk_fma_f32 v[222:223], v[112:113], s[6:7], v[186:187] neg_lo:[1,0,0] neg_hi:[1,0,0]
	v_pk_mul_f32 v[190:191], v[132:133], s[58:59]
	v_mov_b32_e32 v222, v220
	v_pk_add_f32 v[216:217], v[222:223], v[216:217]
	v_pk_fma_f32 v[222:223], v[114:115], s[38:39], v[190:191]
	v_pk_fma_f32 v[224:225], v[114:115], s[38:39], v[190:191] neg_lo:[1,0,0] neg_hi:[1,0,0]
	v_pk_mul_f32 v[200:201], v[134:135], s[68:69]
	;; [unrolled: 5-line block ×5, first 2 shown]
	v_mov_b32_e32 v230, v228
	v_pk_add_f32 v[216:217], v[230:231], v[216:217]
	v_pk_fma_f32 v[230:231], v[122:123], s[24:25], v[212:213]
	v_pk_fma_f32 v[232:233], v[122:123], s[24:25], v[212:213] neg_lo:[1,0,0] neg_hi:[1,0,0]
	s_mov_b32 s48, s45
	v_mov_b32_e32 v232, v230
	v_pk_add_f32 v[216:217], v[232:233], v[216:217]
	v_pk_mul_f32 v[126:127], v[126:127], s[44:45] op_sel_hi:[1,0]
	ds_write2_b64 v73, v[156:157], v[216:217] offset0:6 offset1:7
	v_pk_mul_f32 v[128:129], v[128:129], s[46:47]
	v_pk_fma_f32 v[156:157], v[124:125], s[48:49], v[126:127] op_sel:[0,0,1] op_sel_hi:[1,0,0]
	v_pk_fma_f32 v[124:125], v[124:125], s[48:49], v[126:127] op_sel:[0,0,1] op_sel_hi:[1,0,0] neg_lo:[0,0,1] neg_hi:[0,0,1]
	v_mov_b32_e32 v126, v156
	v_mov_b32_e32 v127, v125
	v_pk_fma_f32 v[216:217], v[110:111], s[22:23], v[128:129]
	v_pk_fma_f32 v[232:233], v[110:111], s[22:23], v[128:129] neg_lo:[1,0,0] neg_hi:[1,0,0]
	v_mov_b32_e32 v125, v157
	v_pk_fma_f32 v[128:129], v[110:111], s[22:23], v[128:129] neg_lo:[0,0,1] neg_hi:[0,0,1]
	v_pk_mul_f32 v[130:131], v[130:131], s[50:51]
	v_pk_add_f32 v[126:127], v[44:45], v[126:127]
	v_mov_b32_e32 v232, v216
	v_pk_add_f32 v[124:125], v[44:45], v[124:125]
	v_mov_b32_e32 v129, v217
	v_pk_add_f32 v[126:127], v[232:233], v[126:127]
	v_pk_fma_f32 v[232:233], v[112:113], s[16:17], v[130:131]
	v_pk_fma_f32 v[234:235], v[112:113], s[16:17], v[130:131] neg_lo:[1,0,0] neg_hi:[1,0,0]
	v_pk_add_f32 v[124:125], v[128:129], v[124:125]
	v_pk_fma_f32 v[128:129], v[112:113], s[16:17], v[130:131] neg_lo:[0,0,1] neg_hi:[0,0,1]
	v_pk_mul_f32 v[132:133], v[132:133], s[52:53]
	v_mov_b32_e32 v234, v232
	v_mov_b32_e32 v129, v233
	v_pk_add_f32 v[126:127], v[234:235], v[126:127]
	v_pk_fma_f32 v[234:235], v[114:115], s[34:35], v[132:133]
	v_pk_fma_f32 v[236:237], v[114:115], s[34:35], v[132:133] neg_lo:[1,0,0] neg_hi:[1,0,0]
	v_pk_add_f32 v[124:125], v[128:129], v[124:125]
	v_pk_fma_f32 v[128:129], v[114:115], s[34:35], v[132:133] neg_lo:[0,0,1] neg_hi:[0,0,1]
	v_pk_mul_f32 v[134:135], v[134:135], s[64:65]
	v_mov_b32_e32 v236, v234
	;; [unrolled: 8-line block ×5, first 2 shown]
	v_mov_b32_e32 v129, v241
	v_pk_add_f32 v[126:127], v[242:243], v[126:127]
	v_pk_fma_f32 v[242:243], v[122:123], s[42:43], v[140:141]
	v_pk_fma_f32 v[244:245], v[122:123], s[42:43], v[140:141] neg_lo:[1,0,0] neg_hi:[1,0,0]
	v_pk_add_f32 v[124:125], v[128:129], v[124:125]
	v_pk_fma_f32 v[128:129], v[122:123], s[42:43], v[140:141] neg_lo:[0,0,1] neg_hi:[0,0,1]
	v_mov_b32_e32 v244, v242
	v_mov_b32_e32 v129, v243
	v_pk_add_f32 v[126:127], v[244:245], v[126:127]
	v_pk_add_f32 v[124:125], v[128:129], v[124:125]
	ds_write2_b64 v73, v[126:127], v[124:125] offset0:8 offset1:9
	v_mov_b32_e32 v179, v215
	v_pk_fma_f32 v[126:127], v[110:111], s[54:55], v[182:183] neg_lo:[0,0,1] neg_hi:[0,0,1]
	v_mov_b32_e32 v77, v155
	v_pk_fma_f32 v[78:79], v[110:111], s[18:19], v[78:79] neg_lo:[0,0,1] neg_hi:[0,0,1]
	v_pk_add_f32 v[124:125], v[44:45], v[178:179]
	v_mov_b32_e32 v127, v219
	v_pk_add_f32 v[76:77], v[44:45], v[76:77]
	v_mov_b32_e32 v79, v159
	v_pk_add_f32 v[124:125], v[126:127], v[124:125]
	v_pk_fma_f32 v[126:127], v[112:113], s[6:7], v[186:187] neg_lo:[0,0,1] neg_hi:[0,0,1]
	v_pk_add_f32 v[76:77], v[78:79], v[76:77]
	v_pk_fma_f32 v[78:79], v[112:113], s[36:37], v[90:91] neg_lo:[0,0,1] neg_hi:[0,0,1]
	v_mov_b32_e32 v127, v221
	v_mov_b32_e32 v79, v161
	v_pk_add_f32 v[124:125], v[126:127], v[124:125]
	v_pk_fma_f32 v[126:127], v[114:115], s[38:39], v[190:191] neg_lo:[0,0,1] neg_hi:[0,0,1]
	v_pk_add_f32 v[76:77], v[78:79], v[76:77]
	v_pk_fma_f32 v[78:79], v[114:115], s[16:17], v[142:143] neg_lo:[0,0,1] neg_hi:[0,0,1]
	v_mov_b32_e32 v127, v223
	;; [unrolled: 6-line block ×6, first 2 shown]
	v_mov_b32_e32 v79, v175
	v_pk_add_f32 v[124:125], v[126:127], v[124:125]
	v_pk_add_f32 v[76:77], v[78:79], v[76:77]
	ds_write2_b64 v73, v[124:125], v[76:77] offset0:10 offset1:11
	ds_write2_b64 v73, v[100:101], v[98:99] offset0:12 offset1:13
	v_mov_b32_e32 v177, v65
	v_pk_fma_f32 v[76:77], v[110:111], s[30:31], v[180:181] neg_lo:[0,0,1] neg_hi:[0,0,1]
	v_pk_add_f32 v[64:65], v[44:45], v[176:177]
	v_mov_b32_e32 v77, v63
	v_pk_add_f32 v[62:63], v[76:77], v[64:65]
	v_pk_fma_f32 v[64:65], v[112:113], s[66:67], v[184:185] neg_lo:[0,0,1] neg_hi:[0,0,1]
	v_mov_b32_e32 v145, v15
	v_mov_b32_e32 v65, v61
	v_pk_add_f32 v[60:61], v[64:65], v[62:63]
	v_pk_fma_f32 v[62:63], v[114:115], s[18:19], v[188:189] neg_lo:[0,0,1] neg_hi:[0,0,1]
	v_pk_fma_f32 v[52:53], v[110:111], s[6:7], v[52:53] neg_lo:[0,0,1] neg_hi:[0,0,1]
	v_mov_b32_e32 v63, v59
	v_pk_add_f32 v[58:59], v[62:63], v[60:61]
	v_pk_fma_f32 v[60:61], v[116:117], s[34:35], v[194:195] neg_lo:[0,0,1] neg_hi:[0,0,1]
	v_accvgpr_read_b32 v53, a33
	v_mov_b32_e32 v61, v57
	v_pk_add_f32 v[56:57], v[60:61], v[58:59]
	v_pk_fma_f32 v[58:59], v[118:119], s[36:37], v[198:199] neg_lo:[0,0,1] neg_hi:[0,0,1]
	v_pk_fma_f32 v[50:51], v[112:113], s[30:31], v[50:51] neg_lo:[0,0,1] neg_hi:[0,0,1]
	v_mov_b32_e32 v59, v197
	v_pk_add_f32 v[56:57], v[58:59], v[56:57]
	v_pk_fma_f32 v[58:59], v[120:121], s[6:7], v[204:205] neg_lo:[0,0,1] neg_hi:[0,0,1]
	v_accvgpr_read_b32 v51, a35
	v_mov_b32_e32 v59, v203
	v_pk_add_f32 v[56:57], v[58:59], v[56:57]
	v_pk_fma_f32 v[58:59], v[122:123], s[16:17], v[208:209] neg_lo:[0,0,1] neg_hi:[0,0,1]
	v_pk_fma_f32 v[48:49], v[114:115], s[0:1], v[48:49] neg_lo:[0,0,1] neg_hi:[0,0,1]
	v_mov_b32_e32 v59, v55
	v_pk_add_f32 v[54:55], v[58:59], v[56:57]
	v_pk_add_f32 v[56:57], v[44:45], v[144:145]
	v_accvgpr_read_b32 v49, a37
	v_pk_add_f32 v[52:53], v[52:53], v[56:57]
	v_pk_fma_f32 v[46:47], v[116:117], s[26:27], v[46:47] neg_lo:[0,0,1] neg_hi:[0,0,1]
	v_pk_add_f32 v[50:51], v[50:51], v[52:53]
	v_accvgpr_read_b32 v47, a39
	v_pk_add_f32 v[48:49], v[48:49], v[50:51]
	v_pk_fma_f32 v[12:13], v[118:119], s[18:19], v[12:13] neg_lo:[0,0,1] neg_hi:[0,0,1]
	;; [unrolled: 4-line block ×3, first 2 shown]
	v_accvgpr_read_b32 v15, a9
	v_accvgpr_read_b32 v47, a43
	v_pk_add_f32 v[12:13], v[46:47], v[12:13]
	v_pk_fma_f32 v[46:47], v[122:123], s[22:23], v[172:173] neg_lo:[0,0,1] neg_hi:[0,0,1]
	v_accvgpr_read_b32 v160, a5
	v_accvgpr_read_b32 v47, a45
	v_pk_add_f32 v[12:13], v[46:47], v[12:13]
	ds_write2_b64 v73, v[54:55], v[12:13] offset0:14 offset1:15
	v_pk_add_f32 v[12:13], v[44:45], v[14:15]
	v_accvgpr_read_b32 v14, a14
	v_accvgpr_read_b32 v15, a15
	v_pk_fma_f32 v[14:15], v[110:111], s[40:41], v[14:15] neg_lo:[0,0,1] neg_hi:[0,0,1]
	v_accvgpr_read_b32 v164, a7
	v_accvgpr_read_b32 v15, a11
	v_pk_add_f32 v[12:13], v[14:15], v[12:13]
	v_accvgpr_read_b32 v14, a18
	v_accvgpr_read_b32 v15, a19
	v_pk_fma_f32 v[14:15], v[112:113], s[20:21], v[14:15] neg_lo:[0,0,1] neg_hi:[0,0,1]
	v_accvgpr_read_b32 v157, a4
	v_accvgpr_read_b32 v15, a13
	;; [unrolled: 6-line block ×4, first 2 shown]
	v_pk_add_f32 v[12:13], v[14:15], v[12:13]
	v_pk_fma_f32 v[14:15], v[118:119], s[30:31], v[70:71] neg_lo:[0,0,1] neg_hi:[0,0,1]
	v_accvgpr_read_b32 v165, a8
	v_accvgpr_read_b32 v15, a25
	v_pk_add_f32 v[12:13], v[14:15], v[12:13]
	v_pk_fma_f32 v[14:15], v[120:121], s[16:17], v[68:69] neg_lo:[0,0,1] neg_hi:[0,0,1]
	v_accvgpr_read_b32 v153, a3
	v_accvgpr_read_b32 v15, a29
	;; [unrolled: 4-line block ×3, first 2 shown]
	v_pk_add_f32 v[12:13], v[14:15], v[12:13]
	ds_write_b64 v73, v[12:13] offset:128
.LBB0_17:
	s_or_b64 exec, exec, s[28:29]
	v_add_u32_e32 v50, 0x1c00, v75
	s_waitcnt lgkmcnt(0)
	s_barrier
	ds_read2_b64 v[52:55], v50 offset0:56 offset1:175
	v_add_u32_e32 v12, 0x2400, v75
	ds_read2_b64 v[44:47], v12 offset0:38 offset1:157
	v_add_u32_e32 v12, 0x400, v75
	ds_read2_b64 v[56:59], v12 offset0:110 offset1:229
	s_waitcnt lgkmcnt(2)
	v_pk_mul_f32 v[12:13], v[80:81], v[54:55] op_sel:[1,0]
	v_add_u32_e32 v51, 0xc00, v75
	v_pk_fma_f32 v[14:15], v[80:81], v[54:55], v[12:13] op_sel:[0,0,1] op_sel_hi:[1,1,0]
	v_pk_fma_f32 v[12:13], v[80:81], v[54:55], v[12:13] op_sel:[0,0,1] op_sel_hi:[0,1,0] neg_lo:[0,0,1] neg_hi:[0,0,1]
	ds_read2_b64 v[60:63], v51 offset0:92 offset1:211
	v_mov_b32_e32 v15, v13
	s_waitcnt lgkmcnt(1)
	v_pk_add_f32 v[12:13], v[58:59], v[14:15] neg_lo:[0,1] neg_hi:[0,1]
	v_pk_mul_f32 v[14:15], v[92:93], v[44:45]
	s_nop 0
	v_pk_fma_f32 v[48:49], v[108:109], v[44:45], v[14:15] op_sel:[0,0,1] op_sel_hi:[1,1,0]
	v_pk_fma_f32 v[14:15], v[108:109], v[44:45], v[14:15] op_sel:[0,0,1] op_sel_hi:[1,1,0] neg_lo:[0,0,1] neg_hi:[0,0,1]
	s_nop 0
	v_mov_b32_e32 v49, v15
	s_waitcnt lgkmcnt(0)
	v_pk_add_f32 v[44:45], v[60:61], v[48:49] neg_lo:[0,1] neg_hi:[0,1]
	v_pk_mul_f32 v[48:49], v[82:83], v[46:47] op_sel:[0,1]
	v_pk_fma_f32 v[14:15], v[60:61], 2.0, v[44:45] op_sel_hi:[1,0,1] neg_lo:[0,0,1] neg_hi:[0,0,1]
	v_pk_fma_f32 v[54:55], v[82:83], v[46:47], v[48:49] op_sel:[0,0,1] op_sel_hi:[1,0,0] neg_lo:[1,0,0] neg_hi:[1,0,0]
	v_pk_fma_f32 v[46:47], v[82:83], v[46:47], v[48:49] op_sel:[0,0,1] op_sel_hi:[1,0,0]
	v_add_u32_e32 v60, 0x1400, v75
	v_mov_b32_e32 v47, v55
	v_pk_add_f32 v[48:49], v[62:63], v[46:47] neg_lo:[0,1] neg_hi:[0,1]
	v_pk_mul_f32 v[54:55], v[88:89], v[52:53]
	v_pk_fma_f32 v[46:47], v[62:63], 2.0, v[48:49] op_sel_hi:[1,0,1] neg_lo:[0,0,1] neg_hi:[0,0,1]
	ds_read2_b64 v[60:63], v60 offset0:74 offset1:193
	v_pk_fma_f32 v[64:65], v[106:107], v[52:53], v[54:55] op_sel:[0,0,1] op_sel_hi:[1,1,0]
	v_pk_fma_f32 v[52:53], v[106:107], v[52:53], v[54:55] op_sel:[0,0,1] op_sel_hi:[1,1,0] neg_lo:[0,0,1] neg_hi:[0,0,1]
	s_waitcnt lgkmcnt(0)
	v_pk_mul_f32 v[66:67], v[86:87], v[62:63]
	v_mov_b32_e32 v65, v53
	ds_read2_b64 v[52:55], v75 offset1:119
	v_pk_fma_f32 v[68:69], v[104:105], v[62:63], v[66:67] op_sel:[0,0,1] op_sel_hi:[1,1,0]
	v_pk_fma_f32 v[62:63], v[104:105], v[62:63], v[66:67] op_sel:[0,0,1] op_sel_hi:[1,1,0] neg_lo:[0,0,1] neg_hi:[0,0,1]
	v_pk_mul_f32 v[66:67], v[84:85], v[60:61]
	v_mov_b32_e32 v69, v63
	s_waitcnt lgkmcnt(0)
	v_pk_add_f32 v[62:63], v[54:55], v[68:69] neg_lo:[0,1] neg_hi:[0,1]
	v_pk_fma_f32 v[68:69], v[102:103], v[60:61], v[66:67] op_sel:[0,0,1] op_sel_hi:[1,1,0]
	v_pk_fma_f32 v[60:61], v[102:103], v[60:61], v[66:67] op_sel:[0,0,1] op_sel_hi:[1,1,0] neg_lo:[0,0,1] neg_hi:[0,0,1]
	v_pk_add_f32 v[64:65], v[56:57], v[64:65] neg_lo:[0,1] neg_hi:[0,1]
	v_mov_b32_e32 v69, v61
	v_pk_add_f32 v[60:61], v[52:53], v[68:69] neg_lo:[0,1] neg_hi:[0,1]
	v_pk_fma_f32 v[54:55], v[54:55], 2.0, v[62:63] op_sel_hi:[1,0,1] neg_lo:[0,0,1] neg_hi:[0,0,1]
	v_pk_fma_f32 v[52:53], v[52:53], 2.0, v[60:61] op_sel_hi:[1,0,1] neg_lo:[0,0,1] neg_hi:[0,0,1]
	s_barrier
	ds_write2_b64 v153, v[52:53], v[60:61] offset1:17
	ds_write2_b64 v157, v[54:55], v[62:63] offset1:17
	v_pk_fma_f32 v[52:53], v[56:57], 2.0, v[64:65] op_sel_hi:[1,0,1] neg_lo:[0,0,1] neg_hi:[0,0,1]
	ds_write2_b64 v160, v[52:53], v[64:65] offset1:17
	v_pk_fma_f32 v[52:53], v[58:59], 2.0, v[12:13] op_sel_hi:[1,0,1] neg_lo:[0,0,1] neg_hi:[0,0,1]
	ds_write2_b64 v161, v[52:53], v[12:13] offset1:17
	ds_write2_b64 v164, v[14:15], v[44:45] offset1:17
	;; [unrolled: 1-line block ×3, first 2 shown]
	s_waitcnt lgkmcnt(0)
	s_barrier
	ds_read2_b64 v[52:55], v75 offset1:204
	ds_read2_b64 v[60:63], v51 offset0:24 offset1:228
	v_add_u32_e32 v51, 0x1800, v75
	ds_read2_b64 v[56:59], v51 offset0:48 offset1:252
	ds_read_b64 v[78:79], v75 offset:9792
	s_and_saveexec_b64 s[0:1], s[2:3]
	s_cbranch_execz .LBB0_19
; %bb.18:
	v_add_u32_e32 v12, 0x300, v75
	v_add_u32_e32 v44, 0x1000, v75
	ds_read2_b64 v[12:15], v12 offset0:23 offset1:227
	ds_read2_b64 v[44:47], v44 offset0:15 offset1:219
	ds_read2_b64 v[48:51], v50 offset0:39 offset1:243
	ds_read_b64 v[98:99], v75 offset:10744
	s_waitcnt lgkmcnt(1)
	v_mov_b64_e32 v[100:101], v[50:51]
.LBB0_19:
	s_or_b64 exec, exec, s[0:1]
	s_waitcnt lgkmcnt(2)
	v_pk_mul_f32 v[90:91], v[24:25], v[62:63] op_sel:[0,1] op_sel_hi:[1,0]
	v_pk_mul_f32 v[76:77], v[20:21], v[54:55] op_sel_hi:[1,0]
	v_mov_b32_e32 v80, v55
	v_mov_b32_e32 v90, v91
	s_waitcnt lgkmcnt(1)
	v_pk_mul_f32 v[92:93], v[26:27], v[56:57] op_sel:[0,1] op_sel_hi:[1,0]
	v_pk_mul_f32 v[82:83], v[22:23], v[60:61] op_sel_hi:[1,0]
	v_mov_b32_e32 v84, v61
	v_pk_mul_f32 v[86:87], v[24:25], v[62:63]
	v_mov_b32_e32 v88, v25
	v_pk_fma_f32 v[24:25], v[24:25], v[62:63], v[90:91] op_sel:[0,1,0] op_sel_hi:[1,0,1] neg_lo:[0,0,1] neg_hi:[0,0,1]
	v_mov_b32_e32 v90, v27
	v_mov_b32_e32 v92, v93
	v_pk_fma_f32 v[80:81], v[20:21], v[80:81], v[76:77] op_sel:[0,0,1] op_sel_hi:[1,1,0] neg_lo:[0,0,1] neg_hi:[0,0,1]
	v_pk_fma_f32 v[20:21], v[20:21], v[54:55], v[76:77] op_sel:[0,1,1] op_sel_hi:[1,1,0]
	v_pk_mul_f32 v[88:89], v[88:89], v[62:63] op_sel:[0,1] op_sel_hi:[1,0]
	v_pk_mul_f32 v[62:63], v[26:27], v[56:57]
	v_pk_mul_f32 v[90:91], v[90:91], v[56:57] op_sel:[0,1] op_sel_hi:[1,0]
	v_pk_fma_f32 v[26:27], v[26:27], v[56:57], v[92:93] op_sel:[0,1,0] op_sel_hi:[1,0,1] neg_lo:[0,0,1] neg_hi:[0,0,1]
	v_pk_mul_f32 v[56:57], v[16:17], v[58:59] op_sel_hi:[1,0]
	v_mov_b32_e32 v92, v59
	v_mov_b32_e32 v81, v21
	v_pk_fma_f32 v[20:21], v[22:23], v[84:85], v[82:83] op_sel:[0,0,1] op_sel_hi:[1,1,0] neg_lo:[0,0,1] neg_hi:[0,0,1]
	v_pk_fma_f32 v[22:23], v[22:23], v[60:61], v[82:83] op_sel:[0,1,1] op_sel_hi:[1,1,0]
	s_waitcnt lgkmcnt(0)
	v_pk_mul_f32 v[102:103], v[18:19], v[78:79] op_sel_hi:[1,0]
	v_mov_b32_e32 v104, v79
	v_mov_b32_e32 v21, v23
	v_pk_fma_f32 v[22:23], v[16:17], v[92:93], v[56:57] op_sel:[0,0,1] op_sel_hi:[1,1,0] neg_lo:[0,0,1] neg_hi:[0,0,1]
	v_pk_fma_f32 v[16:17], v[16:17], v[58:59], v[56:57] op_sel:[0,1,1] op_sel_hi:[1,1,0]
	v_mov_b32_e32 v63, v80
	v_mov_b32_e32 v23, v17
	v_pk_fma_f32 v[16:17], v[18:19], v[104:105], v[102:103] op_sel:[0,0,1] op_sel_hi:[1,1,0] neg_lo:[0,0,1] neg_hi:[0,0,1]
	v_pk_fma_f32 v[18:19], v[18:19], v[78:79], v[102:103] op_sel:[0,1,1] op_sel_hi:[1,1,0]
	v_mov_b32_e32 v91, v16
	v_mov_b32_e32 v17, v19
	;; [unrolled: 1-line block ×4, first 2 shown]
	v_pk_add_f32 v[18:19], v[80:81], v[16:17]
	v_pk_add_f32 v[54:55], v[80:81], v[16:17] neg_lo:[0,1] neg_hi:[0,1]
	v_pk_add_f32 v[56:57], v[20:21], v[22:23]
	v_pk_add_f32 v[58:59], v[20:21], v[22:23] neg_lo:[0,1] neg_hi:[0,1]
	v_pk_add_f32 v[16:17], v[62:63], v[90:91]
	v_pk_add_f32 v[20:21], v[86:87], v[88:89]
	v_mov_b32_e32 v27, v16
	v_mov_b32_e32 v25, v20
	v_pk_add_f32 v[22:23], v[26:27], v[24:25] neg_lo:[0,1] neg_hi:[0,1]
	v_mov_b32_e32 v78, v57
	v_mov_b32_e32 v79, v24
	;; [unrolled: 1-line block ×4, first 2 shown]
	v_pk_add_f32 v[24:25], v[78:79], v[24:25]
	v_pk_add_f32 v[26:27], v[20:21], v[16:17]
	v_mov_b32_e32 v60, v22
	v_mov_b32_e32 v61, v55
	;; [unrolled: 1-line block ×4, first 2 shown]
	s_mov_b32 s6, 0x3f08b237
	v_mov_b32_e32 v16, v26
	v_mov_b32_e32 v79, v25
	s_mov_b32 s24, 0x3d64c772
	v_pk_add_f32 v[60:61], v[60:61], v[62:63] neg_lo:[0,1] neg_hi:[0,1]
	s_mov_b32 s7, 0xbeae86e6
	v_mov_b32_e32 v62, v54
	v_mov_b32_e32 v76, v22
	;; [unrolled: 1-line block ×3, first 2 shown]
	v_pk_add_f32 v[78:79], v[16:17], v[78:79] neg_lo:[0,1] neg_hi:[0,1]
	v_mov_b32_e32 v80, v19
	v_mov_b32_e32 v81, v25
	;; [unrolled: 1-line block ×3, first 2 shown]
	v_pk_add_f32 v[24:25], v[24:25], v[26:27]
	s_mov_b32 s25, 0x3f4a47b2
	v_pk_mul_f32 v[60:61], v[60:61], s[6:7]
	v_pk_add_f32 v[62:63], v[62:63], v[76:77] neg_lo:[0,1] neg_hi:[0,1]
	s_mov_b32 s20, s7
	s_mov_b32 s21, s6
	v_pk_add_f32 v[22:23], v[22:23], v[58:59]
	v_pk_add_f32 v[80:81], v[80:81], v[20:21] neg_lo:[0,1] neg_hi:[0,1]
	v_pk_add_f32 v[26:27], v[52:53], v[24:25]
	s_mov_b32 s22, 0xbf955555
	v_pk_mul_f32 v[52:53], v[78:79], s[24:25]
	s_mov_b32 s26, s25
	s_mov_b32 s27, s24
	v_pk_mul_f32 v[76:77], v[62:63], s[20:21]
	v_pk_add_f32 v[22:23], v[22:23], v[54:55]
	s_mov_b32 s0, 0xbee1c552
	v_pk_mul_f32 v[78:79], v[80:81], s[26:27]
	v_pk_fma_f32 v[24:25], v[24:25], s[22:23], v[26:27] op_sel_hi:[1,0,1]
	v_pk_fma_f32 v[80:81], v[80:81], s[26:27], v[52:53]
	v_pk_fma_f32 v[62:63], v[62:63], s[20:21], v[60:61]
	v_pk_add_f32 v[80:81], v[80:81], v[24:25]
	v_pk_fma_f32 v[62:63], v[22:23], s[0:1], v[62:63] op_sel_hi:[1,0,1]
	v_mov_b32_e32 v20, v57
	v_pk_add_f32 v[82:83], v[80:81], v[62:63]
	v_pk_add_f32 v[62:63], v[80:81], v[62:63] neg_lo:[0,1] neg_hi:[0,1]
	v_mov_b32_e32 v80, v82
	v_mov_b32_e32 v81, v63
	;; [unrolled: 1-line block ×3, first 2 shown]
	s_barrier
	ds_write2_b64 v192, v[26:27], v[80:81] offset1:34
	v_pk_add_f32 v[26:27], v[58:59], v[54:55] neg_lo:[0,1] neg_hi:[0,1]
	s_mov_b32 s16, 0xbf5ff5aa
	v_pk_add_f32 v[16:17], v[20:21], v[16:17] neg_lo:[0,1] neg_hi:[0,1]
	s_mov_b32 s18, 0x3f3bfb3b
	v_mov_b32_e32 v18, v78
	v_mov_b32_e32 v19, v53
	;; [unrolled: 1-line block ×6, first 2 shown]
	v_pk_fma_f32 v[18:19], v[16:17], s[18:19], v[18:19] op_sel_hi:[1,0,1] neg_lo:[1,0,1] neg_hi:[1,0,1]
	v_pk_fma_f32 v[20:21], v[26:27], s[16:17], v[20:21] op_sel_hi:[1,0,1] neg_lo:[1,0,1] neg_hi:[1,0,1]
	;; [unrolled: 1-line block ×4, first 2 shown]
	v_pk_add_f32 v[18:19], v[18:19], v[24:25]
	v_pk_fma_f32 v[20:21], v[22:23], s[0:1], v[20:21] op_sel_hi:[1,0,1]
	v_pk_add_f32 v[16:17], v[16:17], v[24:25]
	v_pk_fma_f32 v[22:23], v[22:23], s[0:1], v[26:27] op_sel_hi:[1,0,1]
	v_pk_add_f32 v[54:55], v[18:19], v[20:21]
	v_pk_add_f32 v[18:19], v[18:19], v[20:21] neg_lo:[0,1] neg_hi:[0,1]
	v_pk_add_f32 v[24:25], v[16:17], v[22:23] neg_lo:[0,1] neg_hi:[0,1]
	v_pk_add_f32 v[16:17], v[16:17], v[22:23]
	v_mov_b32_e32 v70, v40
	v_mov_b32_e32 v71, v40
	;; [unrolled: 1-line block ×22, first 2 shown]
	ds_write2_b64 v192, v[20:21], v[22:23] offset0:68 offset1:102
	ds_write2_b64 v192, v[16:17], v[18:19] offset0:136 offset1:170
	ds_write_b64 v192, v[62:63] offset:1632
	s_and_saveexec_b64 s[28:29], s[2:3]
	s_cbranch_execz .LBB0_21
; %bb.20:
	v_mov_b32_e32 v16, v9
	v_mov_b32_e32 v17, v8
	v_pk_mul_f32 v[56:57], v[16:17], v[46:47]
	v_mov_b32_e32 v26, v47
	v_mov_b32_e32 v56, v57
	v_pk_mul_f32 v[8:9], v[8:9], v[46:47]
	v_pk_mul_f32 v[26:27], v[16:17], v[26:27]
	v_pk_fma_f32 v[16:17], v[16:17], v[46:47], v[56:57] neg_lo:[1,0,0] neg_hi:[1,0,0]
	v_pk_mul_f32 v[46:47], v[10:11], v[48:49] op_sel:[0,1] op_sel_hi:[1,0]
	v_pk_mul_f32 v[20:21], v[2:3], v[98:99] op_sel_hi:[1,0]
	v_mov_b32_e32 v46, v47
	v_pk_mul_f32 v[18:19], v[4:5], v[14:15] op_sel_hi:[1,0]
	v_pk_mul_f32 v[22:23], v[10:11], v[48:49]
	v_pk_fma_f32 v[10:11], v[10:11], v[48:49], v[46:47] op_sel:[0,1,0] op_sel_hi:[1,0,1] neg_lo:[0,0,1] neg_hi:[0,0,1]
	v_pk_fma_f32 v[46:47], v[2:3], v[98:99], v[20:21] op_sel:[0,1,1] op_sel_hi:[1,1,0] neg_lo:[0,0,1] neg_hi:[0,0,1]
	v_pk_fma_f32 v[2:3], v[2:3], v[98:99], v[20:21] op_sel:[0,1,1] op_sel_hi:[1,1,0]
	v_pk_mul_f32 v[54:55], v[0:1], v[100:101] op_sel_hi:[1,0]
	v_mov_b32_e32 v47, v3
	v_pk_fma_f32 v[2:3], v[4:5], v[14:15], v[18:19] op_sel:[0,1,1] op_sel_hi:[1,1,0] neg_lo:[0,0,1] neg_hi:[0,0,1]
	v_pk_fma_f32 v[4:5], v[4:5], v[14:15], v[18:19] op_sel:[0,1,1] op_sel_hi:[1,1,0]
	v_pk_mul_f32 v[52:53], v[6:7], v[44:45] op_sel_hi:[1,0]
	v_mov_b32_e32 v3, v5
	v_pk_fma_f32 v[4:5], v[0:1], v[100:101], v[54:55] op_sel:[0,1,1] op_sel_hi:[1,1,0] neg_lo:[0,0,1] neg_hi:[0,0,1]
	v_pk_fma_f32 v[0:1], v[0:1], v[100:101], v[54:55] op_sel:[0,1,1] op_sel_hi:[1,1,0]
	v_pk_mul_f32 v[24:25], v[156:157], v[48:49] op_sel:[0,1] op_sel_hi:[1,0]
	v_mul_u32_u24_e32 v9, 0xee, v193
	v_mov_b32_e32 v5, v1
	v_pk_fma_f32 v[0:1], v[6:7], v[44:45], v[52:53] op_sel:[0,1,1] op_sel_hi:[1,1,0] neg_lo:[0,0,1] neg_hi:[0,0,1]
	v_pk_fma_f32 v[6:7], v[6:7], v[44:45], v[52:53] op_sel:[0,1,1] op_sel_hi:[1,1,0]
	v_add_lshl_u32 v48, v9, v152, 3
	v_mov_b32_e32 v1, v7
	v_mov_b32_e32 v9, v46
	;; [unrolled: 1-line block ×5, first 2 shown]
	v_pk_add_f32 v[6:7], v[46:47], v[2:3]
	v_pk_add_f32 v[14:15], v[4:5], v[0:1]
	v_pk_add_f32 v[18:19], v[2:3], v[46:47] neg_lo:[0,1] neg_hi:[0,1]
	v_pk_add_f32 v[20:21], v[0:1], v[4:5] neg_lo:[0,1] neg_hi:[0,1]
	v_pk_add_f32 v[2:3], v[8:9], v[26:27]
	v_pk_add_f32 v[0:1], v[22:23], v[24:25]
	v_mov_b32_e32 v17, v2
	v_mov_b32_e32 v11, v0
	v_pk_add_f32 v[4:5], v[10:11], v[16:17] neg_lo:[0,1] neg_hi:[0,1]
	v_mov_b32_e32 v27, v19
	v_mov_b32_e32 v22, v4
	v_pk_add_f32 v[24:25], v[4:5], v[20:21]
	v_mov_b32_e32 v26, v4
	v_mov_b32_e32 v4, v20
	;; [unrolled: 1-line block ×3, first 2 shown]
	v_pk_add_f32 v[4:5], v[26:27], v[4:5] neg_lo:[0,1] neg_hi:[0,1]
	v_mov_b32_e32 v26, v15
	v_mov_b32_e32 v27, v10
	v_mov_b32_e32 v10, v7
	v_mov_b32_e32 v11, v16
	v_pk_add_f32 v[10:11], v[26:27], v[10:11]
	v_pk_add_f32 v[16:17], v[0:1], v[2:3]
	v_mov_b32_e32 v8, v18
	v_pk_add_f32 v[26:27], v[10:11], v[16:17]
	v_mov_b32_e32 v10, v7
	v_mov_b32_e32 v17, v1
	v_pk_add_f32 v[44:45], v[10:11], v[16:17] neg_lo:[0,1] neg_hi:[0,1]
	v_mov_b32_e32 v17, v3
	v_mov_b32_e32 v10, v15
	;; [unrolled: 1-line block ×3, first 2 shown]
	v_pk_add_f32 v[10:11], v[16:17], v[10:11] neg_lo:[0,1] neg_hi:[0,1]
	v_pk_add_f32 v[8:9], v[8:9], v[22:23] neg_lo:[0,1] neg_hi:[0,1]
	v_pk_mul_f32 v[4:5], v[4:5], s[6:7]
	v_pk_add_f32 v[12:13], v[12:13], v[26:27]
	v_pk_mul_f32 v[10:11], v[10:11], s[24:25]
	v_pk_mul_f32 v[22:23], v[8:9], s[20:21]
	v_pk_add_f32 v[24:25], v[24:25], v[18:19]
	v_pk_fma_f32 v[8:9], v[8:9], s[20:21], v[4:5]
	v_pk_fma_f32 v[16:17], v[44:45], s[26:27], v[10:11]
	v_pk_fma_f32 v[26:27], v[26:27], s[22:23], v[12:13] op_sel_hi:[1,0,1]
	v_pk_fma_f32 v[8:9], v[24:25], s[0:1], v[8:9] op_sel_hi:[1,0,1]
	v_pk_add_f32 v[16:17], v[16:17], v[26:27]
	v_pk_mul_f32 v[46:47], v[44:45], s[26:27]
	v_pk_add_f32 v[44:45], v[16:17], v[8:9]
	v_pk_add_f32 v[8:9], v[16:17], v[8:9] neg_lo:[0,1] neg_hi:[0,1]
	v_mov_b32_e32 v16, v44
	v_mov_b32_e32 v17, v9
	;; [unrolled: 1-line block ×4, first 2 shown]
	ds_write2_b64 v48, v[12:13], v[16:17] offset1:34
	v_pk_add_f32 v[12:13], v[20:21], v[18:19] neg_lo:[0,1] neg_hi:[0,1]
	v_mov_b32_e32 v16, v22
	v_mov_b32_e32 v17, v5
	v_pk_add_f32 v[0:1], v[0:1], v[2:3] neg_lo:[0,1] neg_hi:[0,1]
	v_mov_b32_e32 v2, v46
	v_mov_b32_e32 v3, v11
	;; [unrolled: 1-line block ×4, first 2 shown]
	v_pk_fma_f32 v[16:17], v[12:13], s[16:17], v[16:17] op_sel_hi:[1,0,1] neg_lo:[1,0,1] neg_hi:[1,0,1]
	v_pk_fma_f32 v[2:3], v[0:1], s[18:19], v[2:3] op_sel_hi:[1,0,1] neg_lo:[1,0,1] neg_hi:[1,0,1]
	v_pk_fma_f32 v[4:5], v[12:13], s[16:17], v[4:5] op_sel_hi:[1,0,1] neg_lo:[0,0,1] neg_hi:[0,0,1]
	v_pk_fma_f32 v[0:1], v[0:1], s[18:19], v[10:11] op_sel_hi:[1,0,1] neg_lo:[0,0,1] neg_hi:[0,0,1]
	v_pk_fma_f32 v[16:17], v[24:25], s[0:1], v[16:17] op_sel_hi:[1,0,1]
	v_pk_add_f32 v[2:3], v[2:3], v[26:27]
	v_pk_fma_f32 v[4:5], v[24:25], s[0:1], v[4:5] op_sel_hi:[1,0,1]
	v_pk_add_f32 v[0:1], v[0:1], v[26:27]
	v_pk_add_f32 v[6:7], v[2:3], v[16:17]
	v_pk_add_f32 v[2:3], v[2:3], v[16:17] neg_lo:[0,1] neg_hi:[0,1]
	v_pk_add_f32 v[10:11], v[0:1], v[4:5] neg_lo:[0,1] neg_hi:[0,1]
	v_pk_add_f32 v[0:1], v[0:1], v[4:5]
	v_mov_b32_e32 v14, v6
	v_mov_b32_e32 v15, v3
	;; [unrolled: 1-line block ×7, first 2 shown]
	ds_write2_b64 v48, v[14:15], v[4:5] offset0:68 offset1:102
	ds_write2_b64 v48, v[0:1], v[2:3] offset0:136 offset1:170
	ds_write_b64 v48, v[8:9] offset:1632
.LBB0_21:
	s_or_b64 exec, exec, s[28:29]
	v_add_u32_e32 v44, 0x400, v75
	s_waitcnt lgkmcnt(0)
	s_barrier
	ds_read2_b64 v[4:7], v44 offset0:110 offset1:229
	v_add_u32_e32 v45, 0xc00, v75
	ds_read2_b64 v[8:11], v45 offset0:92 offset1:211
	v_add_u32_e32 v46, 0x1400, v75
	;; [unrolled: 2-line block ×3, first 2 shown]
	ds_read2_b64 v[16:19], v47 offset0:56 offset1:175
	s_waitcnt lgkmcnt(3)
	v_pk_mul_f32 v[24:25], v[40:41], v[4:5]
	v_add_u32_e32 v48, 0x2400, v75
	v_pk_fma_f32 v[26:27], v[70:71], v[4:5], v[24:25] op_sel:[0,0,1] op_sel_hi:[1,1,0]
	v_pk_fma_f32 v[4:5], v[70:71], v[4:5], v[24:25] op_sel:[0,0,1] op_sel_hi:[1,1,0] neg_lo:[0,0,1] neg_hi:[0,0,1]
	s_waitcnt lgkmcnt(2)
	v_pk_mul_f32 v[24:25], v[42:43], v[8:9]
	ds_read2_b64 v[20:23], v48 offset0:38 offset1:157
	v_pk_fma_f32 v[40:41], v[68:69], v[8:9], v[24:25] op_sel:[0,0,1] op_sel_hi:[1,1,0]
	v_pk_fma_f32 v[8:9], v[68:69], v[8:9], v[24:25] op_sel:[0,0,1] op_sel_hi:[1,1,0] neg_lo:[0,0,1] neg_hi:[0,0,1]
	v_mov_b32_e32 v27, v5
	v_mov_b32_e32 v41, v9
	s_waitcnt lgkmcnt(2)
	v_pk_mul_f32 v[8:9], v[36:37], v[12:13]
	v_mov_b32_e32 v4, v26
	v_pk_fma_f32 v[24:25], v[66:67], v[12:13], v[8:9] op_sel:[0,0,1] op_sel_hi:[1,1,0]
	v_pk_fma_f32 v[8:9], v[66:67], v[12:13], v[8:9] op_sel:[0,0,1] op_sel_hi:[1,1,0] neg_lo:[0,0,1] neg_hi:[0,0,1]
	ds_read2_b64 v[0:3], v75 offset1:119
	v_mov_b32_e32 v25, v9
	s_waitcnt lgkmcnt(2)
	v_pk_mul_f32 v[8:9], v[38:39], v[16:17]
	s_mov_b32 s2, 0x3f5db3d7
	v_pk_fma_f32 v[12:13], v[64:65], v[16:17], v[8:9] op_sel:[0,0,1] op_sel_hi:[1,1,0]
	v_pk_fma_f32 v[8:9], v[64:65], v[16:17], v[8:9] op_sel:[0,0,1] op_sel_hi:[1,1,0] neg_lo:[0,0,1] neg_hi:[0,0,1]
	s_mov_b32 s6, 0.5
	v_mov_b32_e32 v13, v9
	s_waitcnt lgkmcnt(1)
	v_pk_mul_f32 v[8:9], v[96:97], v[20:21]
	s_mov_b32 s7, s2
	v_pk_fma_f32 v[16:17], v[50:51], v[20:21], v[8:9] op_sel:[0,0,1] op_sel_hi:[1,1,0]
	v_pk_fma_f32 v[8:9], v[50:51], v[20:21], v[8:9] op_sel:[0,0,1] op_sel_hi:[1,1,0] neg_lo:[0,0,1] neg_hi:[0,0,1]
	s_mov_b32 s0, -0.5
	v_mov_b32_e32 v17, v9
	v_pk_add_f32 v[20:21], v[24:25], v[16:17]
	v_pk_add_f32 v[36:37], v[24:25], v[16:17] neg_lo:[0,1] neg_hi:[0,1]
	v_fmac_f32_e32 v4, -0.5, v20
	v_pk_add_f32 v[24:25], v[26:27], v[24:25]
	v_fmac_f32_e32 v5, -0.5, v21
	v_fmamk_f32 v20, v37, 0xbf5db3d7, v4
	v_fmac_f32_e32 v4, 0x3f5db3d7, v37
	v_pk_add_f32 v[16:17], v[24:25], v[16:17]
	v_fmamk_f32 v24, v36, 0x3f5db3d7, v5
	v_fmac_f32_e32 v5, 0xbf5db3d7, v36
	v_pk_mul_f32 v[36:37], v[32:33], v[6:7] op_sel:[1,0]
	s_waitcnt lgkmcnt(0)
	v_pk_add_f32 v[8:9], v[0:1], v[40:41]
	v_pk_fma_f32 v[38:39], v[32:33], v[6:7], v[36:37] op_sel:[0,0,1] op_sel_hi:[0,1,0]
	v_pk_fma_f32 v[6:7], v[32:33], v[6:7], v[36:37] op_sel:[0,0,1] op_sel_hi:[0,1,0] neg_lo:[0,0,1] neg_hi:[0,0,1]
	v_pk_mul_f32 v[32:33], v[34:35], v[10:11] op_sel:[1,0]
	v_mov_b32_e32 v39, v7
	v_pk_fma_f32 v[36:37], v[34:35], v[10:11], v[32:33] op_sel:[0,0,1] op_sel_hi:[1,1,0]
	v_pk_fma_f32 v[10:11], v[34:35], v[10:11], v[32:33] op_sel:[0,0,1] op_sel_hi:[0,1,0] neg_lo:[0,0,1] neg_hi:[0,0,1]
	v_mov_b32_e32 v37, v11
	v_pk_mul_f32 v[10:11], v[28:29], v[14:15] op_sel:[1,0]
	v_pk_add_f32 v[8:9], v[8:9], v[12:13]
	v_pk_fma_f32 v[32:33], v[28:29], v[14:15], v[10:11] op_sel:[0,0,1] op_sel_hi:[1,1,0]
	v_pk_fma_f32 v[10:11], v[28:29], v[14:15], v[10:11] op_sel:[0,0,1] op_sel_hi:[0,1,0] neg_lo:[0,0,1] neg_hi:[0,0,1]
	v_mov_b32_e32 v33, v11
	v_pk_mul_f32 v[10:11], v[30:31], v[18:19] op_sel:[1,0]
	s_mov_b32 s1, s2
	v_pk_fma_f32 v[14:15], v[30:31], v[18:19], v[10:11] op_sel:[0,0,1] op_sel_hi:[1,1,0]
	v_pk_fma_f32 v[10:11], v[30:31], v[18:19], v[10:11] op_sel:[0,0,1] op_sel_hi:[0,1,0] neg_lo:[0,0,1] neg_hi:[0,0,1]
	v_mov_b32_e32 v15, v11
	v_pk_mul_f32 v[10:11], v[94:95], v[22:23] op_sel:[1,0]
	v_pk_add_f32 v[30:31], v[38:39], v[32:33]
	v_pk_fma_f32 v[18:19], v[94:95], v[22:23], v[10:11] op_sel:[0,0,1] op_sel_hi:[1,1,0]
	v_pk_fma_f32 v[10:11], v[94:95], v[22:23], v[10:11] op_sel:[0,0,1] op_sel_hi:[0,1,0] neg_lo:[0,0,1] neg_hi:[0,0,1]
	v_mov_b32_e32 v19, v11
	v_pk_add_f32 v[22:23], v[32:33], v[18:19]
	v_pk_add_f32 v[28:29], v[32:33], v[18:19] neg_lo:[0,1] neg_hi:[0,1]
	v_pk_add_f32 v[32:33], v[40:41], v[12:13]
	v_pk_add_f32 v[12:13], v[40:41], v[12:13] neg_lo:[0,1] neg_hi:[0,1]
	v_pk_fma_f32 v[0:1], v[32:33], 0.5, v[0:1] op_sel_hi:[1,0,1] neg_lo:[1,0,0] neg_hi:[1,0,0]
	v_pk_mul_f32 v[12:13], v[12:13], s[2:3] op_sel_hi:[1,0]
	s_mov_b32 s3, s6
	v_pk_mul_f32 v[24:25], v[24:25], s[2:3] op_sel_hi:[0,1]
	v_pk_fma_f32 v[34:35], v[20:21], s[6:7], v[24:25] neg_lo:[0,0,1] neg_hi:[0,0,1]
	v_pk_fma_f32 v[20:21], v[20:21], s[6:7], v[24:25] op_sel_hi:[0,1,1]
	v_mov_b32_e32 v24, v5
	v_pk_add_f32 v[32:33], v[0:1], v[12:13] op_sel:[0,1] op_sel_hi:[1,0] neg_lo:[0,1] neg_hi:[0,1]
	v_pk_add_f32 v[0:1], v[0:1], v[12:13] op_sel:[0,1] op_sel_hi:[1,0]
	v_pk_mul_f32 v[24:25], v[24:25], s[2:3] op_sel_hi:[0,1]
	v_mov_b32_e32 v12, v32
	v_mov_b32_e32 v13, v1
	;; [unrolled: 1-line block ×3, first 2 shown]
	v_pk_fma_f32 v[4:5], v[4:5], s[0:1], v[24:25] op_sel_hi:[0,1,1] neg_lo:[0,0,1] neg_hi:[0,0,1]
	v_mov_b32_e32 v1, v33
	v_pk_add_f32 v[26:27], v[8:9], v[16:17]
	v_pk_add_f32 v[10:11], v[2:3], v[36:37]
	v_mov_b32_e32 v6, v38
	v_fmac_f32_e32 v7, -0.5, v23
	v_pk_add_f32 v[20:21], v[12:13], v[34:35]
	v_pk_add_f32 v[24:25], v[0:1], v[4:5]
	v_pk_add_f32 v[0:1], v[0:1], v[4:5] neg_lo:[0,1] neg_hi:[0,1]
	v_pk_add_f32 v[4:5], v[8:9], v[16:17] neg_lo:[0,1] neg_hi:[0,1]
	;; [unrolled: 1-line block ×3, first 2 shown]
	v_pk_add_f32 v[12:13], v[36:37], v[14:15]
	v_pk_add_f32 v[10:11], v[10:11], v[14:15]
	v_fmac_f32_e32 v6, -0.5, v22
	v_pk_add_f32 v[18:19], v[30:31], v[18:19]
	v_fmamk_f32 v30, v28, 0x3f5db3d7, v7
	v_pk_fma_f32 v[2:3], v[12:13], 0.5, v[2:3] op_sel_hi:[1,0,1] neg_lo:[1,0,0] neg_hi:[1,0,0]
	v_pk_add_f32 v[12:13], v[36:37], v[14:15] neg_lo:[0,1] neg_hi:[0,1]
	v_fmamk_f32 v22, v29, 0xbf5db3d7, v6
	v_fmac_f32_e32 v6, 0x3f5db3d7, v29
	v_fmac_f32_e32 v7, 0xbf5db3d7, v28
	v_pk_add_f32 v[28:29], v[10:11], v[18:19]
	v_pk_mul_f32 v[12:13], v[12:13], s[2:3] op_sel_hi:[1,0]
	v_pk_mul_f32 v[16:17], v[30:31], s[2:3] op_sel_hi:[0,1]
	ds_write2_b64 v75, v[26:27], v[28:29] offset1:119
	v_pk_add_f32 v[14:15], v[2:3], v[12:13] op_sel:[0,1] op_sel_hi:[1,0] neg_lo:[0,1] neg_hi:[0,1]
	v_pk_add_f32 v[2:3], v[2:3], v[12:13] op_sel:[0,1] op_sel_hi:[1,0]
	v_pk_fma_f32 v[26:27], v[22:23], s[6:7], v[16:17] neg_lo:[0,0,1] neg_hi:[0,0,1]
	v_pk_fma_f32 v[16:17], v[22:23], s[6:7], v[16:17] op_sel_hi:[0,1,1]
	v_mov_b32_e32 v12, v14
	v_mov_b32_e32 v13, v3
	;; [unrolled: 1-line block ×3, first 2 shown]
	v_pk_add_f32 v[16:17], v[12:13], v[26:27]
	v_mov_b32_e32 v14, v7
	ds_write2_b64 v44, v[20:21], v[16:17] offset0:110 offset1:229
	v_pk_mul_f32 v[16:17], v[14:15], s[2:3] op_sel_hi:[0,1]
	v_pk_fma_f32 v[6:7], v[6:7], s[0:1], v[16:17] op_sel_hi:[0,1,1] neg_lo:[0,0,1] neg_hi:[0,0,1]
	v_mov_b32_e32 v3, v15
	v_pk_add_f32 v[10:11], v[10:11], v[18:19] neg_lo:[0,1] neg_hi:[0,1]
	v_pk_add_f32 v[14:15], v[2:3], v[6:7]
	ds_write2_b64 v46, v[4:5], v[10:11] offset0:74 offset1:193
	v_pk_add_f32 v[4:5], v[12:13], v[26:27] neg_lo:[0,1] neg_hi:[0,1]
	v_pk_add_f32 v[2:3], v[2:3], v[6:7] neg_lo:[0,1] neg_hi:[0,1]
	ds_write2_b64 v45, v[24:25], v[14:15] offset0:92 offset1:211
	ds_write2_b64 v47, v[8:9], v[4:5] offset0:56 offset1:175
	ds_write2_b64 v48, v[0:1], v[2:3] offset0:38 offset1:157
	s_waitcnt lgkmcnt(0)
	s_barrier
	s_and_b64 exec, exec, s[4:5]
	s_cbranch_execz .LBB0_23
; %bb.22:
	global_load_dwordx2 v[0:1], v72, s[12:13]
	v_accvgpr_read_b32 v14, a0
	v_mad_u64_u32 v[4:5], s[0:1], s10, v14, 0
	ds_read_b64 v[6:7], v75
	v_mad_u64_u32 v[8:9], s[2:3], s8, v74, 0
	v_mov_b32_e32 v10, v5
	v_mov_b32_e32 v12, v9
	v_mad_u64_u32 v[10:11], s[2:3], s11, v14, v[10:11]
	v_mov_b32_e32 v2, s14
	v_mov_b32_e32 v3, s15
	;; [unrolled: 3-line block ×3, first 2 shown]
	v_lshl_add_u64 v[2:3], v[4:5], 3, v[2:3]
	v_lshl_add_u64 v[4:5], v[8:9], 3, v[2:3]
	s_mov_b32 s0, 0x16f26017
	s_mov_b32 s1, 0x3f46f260
	v_mov_b32_e32 v12, 0x2a0
	s_mul_i32 s2, s9, 0x2a0
	v_mov_b32_e32 v73, 0
	s_movk_i32 s3, 0x1000
	s_waitcnt vmcnt(0) lgkmcnt(0)
	v_mul_f32_e32 v2, v7, v1
	v_mul_f32_e32 v1, v6, v1
	v_fmac_f32_e32 v2, v6, v0
	v_fma_f32 v3, v0, v7, -v1
	v_cvt_f64_f32_e32 v[0:1], v2
	v_cvt_f64_f32_e32 v[2:3], v3
	v_mul_f64 v[0:1], v[0:1], s[0:1]
	v_mul_f64 v[2:3], v[2:3], s[0:1]
	v_cvt_f32_f64_e32 v0, v[0:1]
	v_cvt_f32_f64_e32 v1, v[2:3]
	global_store_dwordx2 v[4:5], v[0:1], off
	global_load_dwordx2 v[6:7], v72, s[12:13] offset:672
	ds_read2_b64 v[0:3], v72 offset0:84 offset1:168
	v_mad_u64_u32 v[4:5], s[4:5], s8, v12, v[4:5]
	v_add_u32_e32 v5, s2, v5
	s_waitcnt vmcnt(0) lgkmcnt(0)
	v_mul_f32_e32 v8, v1, v7
	v_mul_f32_e32 v7, v0, v7
	v_fmac_f32_e32 v8, v0, v6
	v_fma_f32 v6, v6, v1, -v7
	v_cvt_f64_f32_e32 v[0:1], v8
	v_cvt_f64_f32_e32 v[6:7], v6
	v_mul_f64 v[0:1], v[0:1], s[0:1]
	v_mul_f64 v[6:7], v[6:7], s[0:1]
	v_cvt_f32_f64_e32 v0, v[0:1]
	v_cvt_f32_f64_e32 v1, v[6:7]
	global_store_dwordx2 v[4:5], v[0:1], off
	global_load_dwordx2 v[0:1], v72, s[12:13] offset:1344
	v_mad_u64_u32 v[4:5], s[4:5], s8, v12, v[4:5]
	v_add_u32_e32 v5, s2, v5
	s_waitcnt vmcnt(0)
	v_mul_f32_e32 v6, v3, v1
	v_mul_f32_e32 v1, v2, v1
	v_fmac_f32_e32 v6, v2, v0
	v_fma_f32 v2, v0, v3, -v1
	v_cvt_f64_f32_e32 v[0:1], v6
	v_cvt_f64_f32_e32 v[2:3], v2
	v_mul_f64 v[0:1], v[0:1], s[0:1]
	v_mul_f64 v[2:3], v[2:3], s[0:1]
	v_cvt_f32_f64_e32 v0, v[0:1]
	v_cvt_f32_f64_e32 v1, v[2:3]
	global_store_dwordx2 v[4:5], v[0:1], off
	global_load_dwordx2 v[6:7], v72, s[12:13] offset:2016
	v_add_u32_e32 v0, 0x400, v72
	ds_read2_b64 v[0:3], v0 offset0:124 offset1:208
	v_mad_u64_u32 v[4:5], s[4:5], s8, v12, v[4:5]
	v_add_u32_e32 v5, s2, v5
	s_waitcnt vmcnt(0) lgkmcnt(0)
	v_mul_f32_e32 v8, v1, v7
	v_mul_f32_e32 v7, v0, v7
	v_fmac_f32_e32 v8, v0, v6
	v_fma_f32 v6, v6, v1, -v7
	v_cvt_f64_f32_e32 v[0:1], v8
	v_cvt_f64_f32_e32 v[6:7], v6
	v_mul_f64 v[0:1], v[0:1], s[0:1]
	v_mul_f64 v[6:7], v[6:7], s[0:1]
	v_cvt_f32_f64_e32 v0, v[0:1]
	v_cvt_f32_f64_e32 v1, v[6:7]
	global_store_dwordx2 v[4:5], v[0:1], off
	global_load_dwordx2 v[0:1], v72, s[12:13] offset:2688
	v_mad_u64_u32 v[4:5], s[4:5], s8, v12, v[4:5]
	v_add_u32_e32 v5, s2, v5
	s_waitcnt vmcnt(0)
	v_mul_f32_e32 v6, v3, v1
	v_mul_f32_e32 v1, v2, v1
	v_fmac_f32_e32 v6, v2, v0
	v_fma_f32 v2, v0, v3, -v1
	v_cvt_f64_f32_e32 v[0:1], v6
	v_cvt_f64_f32_e32 v[2:3], v2
	v_mul_f64 v[0:1], v[0:1], s[0:1]
	v_mul_f64 v[2:3], v[2:3], s[0:1]
	v_cvt_f32_f64_e32 v0, v[0:1]
	v_cvt_f32_f64_e32 v1, v[2:3]
	global_store_dwordx2 v[4:5], v[0:1], off
	global_load_dwordx2 v[6:7], v72, s[12:13] offset:3360
	v_add_u32_e32 v0, 0x800, v72
	ds_read2_b64 v[0:3], v0 offset0:164 offset1:248
	v_mad_u64_u32 v[4:5], s[4:5], s8, v12, v[4:5]
	v_add_u32_e32 v5, s2, v5
	s_waitcnt vmcnt(0) lgkmcnt(0)
	v_mul_f32_e32 v8, v1, v7
	v_mul_f32_e32 v7, v0, v7
	v_fmac_f32_e32 v8, v0, v6
	v_fma_f32 v6, v6, v1, -v7
	v_cvt_f64_f32_e32 v[0:1], v8
	v_cvt_f64_f32_e32 v[6:7], v6
	v_mul_f64 v[0:1], v[0:1], s[0:1]
	v_mul_f64 v[6:7], v[6:7], s[0:1]
	v_cvt_f32_f64_e32 v0, v[0:1]
	v_cvt_f32_f64_e32 v1, v[6:7]
	global_store_dwordx2 v[4:5], v[0:1], off
	global_load_dwordx2 v[0:1], v72, s[12:13] offset:4032
	v_lshl_add_u64 v[6:7], s[12:13], 0, v[72:73]
	v_mad_u64_u32 v[4:5], s[4:5], s8, v12, v[4:5]
	v_add_co_u32_e32 v8, vcc, s3, v6
	v_add_u32_e32 v5, s2, v5
	s_nop 0
	v_addc_co_u32_e32 v9, vcc, 0, v7, vcc
	s_movk_i32 s3, 0x2000
	v_add_co_u32_e32 v6, vcc, s3, v6
	s_waitcnt vmcnt(0)
	v_mul_f32_e32 v10, v3, v1
	v_mul_f32_e32 v1, v2, v1
	v_fmac_f32_e32 v10, v2, v0
	v_fma_f32 v2, v0, v3, -v1
	v_cvt_f64_f32_e32 v[0:1], v10
	v_cvt_f64_f32_e32 v[2:3], v2
	v_mul_f64 v[0:1], v[0:1], s[0:1]
	v_mul_f64 v[2:3], v[2:3], s[0:1]
	v_cvt_f32_f64_e32 v0, v[0:1]
	v_cvt_f32_f64_e32 v1, v[2:3]
	global_store_dwordx2 v[4:5], v[0:1], off
	global_load_dwordx2 v[10:11], v[8:9], off offset:608
	v_add_u32_e32 v0, 0x1000, v72
	ds_read2_b64 v[0:3], v0 offset0:76 offset1:160
	v_mad_u64_u32 v[4:5], s[4:5], s8, v12, v[4:5]
	v_add_u32_e32 v5, s2, v5
	v_addc_co_u32_e32 v7, vcc, 0, v7, vcc
	s_waitcnt vmcnt(0) lgkmcnt(0)
	v_mul_f32_e32 v13, v1, v11
	v_mul_f32_e32 v11, v0, v11
	v_fmac_f32_e32 v13, v0, v10
	v_fma_f32 v10, v10, v1, -v11
	v_cvt_f64_f32_e32 v[0:1], v13
	v_cvt_f64_f32_e32 v[10:11], v10
	v_mul_f64 v[0:1], v[0:1], s[0:1]
	v_mul_f64 v[10:11], v[10:11], s[0:1]
	v_cvt_f32_f64_e32 v0, v[0:1]
	v_cvt_f32_f64_e32 v1, v[10:11]
	global_store_dwordx2 v[4:5], v[0:1], off
	global_load_dwordx2 v[0:1], v[8:9], off offset:1280
	v_mad_u64_u32 v[4:5], s[4:5], s8, v12, v[4:5]
	v_add_u32_e32 v5, s2, v5
	s_waitcnt vmcnt(0)
	v_mul_f32_e32 v10, v3, v1
	v_mul_f32_e32 v1, v2, v1
	v_fmac_f32_e32 v10, v2, v0
	v_fma_f32 v2, v0, v3, -v1
	v_cvt_f64_f32_e32 v[0:1], v10
	v_cvt_f64_f32_e32 v[2:3], v2
	v_mul_f64 v[0:1], v[0:1], s[0:1]
	v_mul_f64 v[2:3], v[2:3], s[0:1]
	v_cvt_f32_f64_e32 v0, v[0:1]
	v_cvt_f32_f64_e32 v1, v[2:3]
	global_store_dwordx2 v[4:5], v[0:1], off
	global_load_dwordx2 v[10:11], v[8:9], off offset:1952
	v_add_u32_e32 v0, 0x1400, v72
	ds_read2_b64 v[0:3], v0 offset0:116 offset1:200
	v_mad_u64_u32 v[4:5], s[4:5], s8, v12, v[4:5]
	v_add_u32_e32 v5, s2, v5
	s_waitcnt vmcnt(0) lgkmcnt(0)
	v_mul_f32_e32 v13, v1, v11
	v_mul_f32_e32 v11, v0, v11
	v_fmac_f32_e32 v13, v0, v10
	v_fma_f32 v10, v10, v1, -v11
	v_cvt_f64_f32_e32 v[0:1], v13
	v_cvt_f64_f32_e32 v[10:11], v10
	v_mul_f64 v[0:1], v[0:1], s[0:1]
	v_mul_f64 v[10:11], v[10:11], s[0:1]
	v_cvt_f32_f64_e32 v0, v[0:1]
	v_cvt_f32_f64_e32 v1, v[10:11]
	global_store_dwordx2 v[4:5], v[0:1], off
	global_load_dwordx2 v[0:1], v[8:9], off offset:2624
	v_mad_u64_u32 v[4:5], s[4:5], s8, v12, v[4:5]
	v_add_u32_e32 v5, s2, v5
	s_waitcnt vmcnt(0)
	v_mul_f32_e32 v10, v3, v1
	v_mul_f32_e32 v1, v2, v1
	v_fmac_f32_e32 v10, v2, v0
	v_fma_f32 v2, v0, v3, -v1
	v_cvt_f64_f32_e32 v[0:1], v10
	v_cvt_f64_f32_e32 v[2:3], v2
	v_mul_f64 v[0:1], v[0:1], s[0:1]
	v_mul_f64 v[2:3], v[2:3], s[0:1]
	v_cvt_f32_f64_e32 v0, v[0:1]
	v_cvt_f32_f64_e32 v1, v[2:3]
	global_store_dwordx2 v[4:5], v[0:1], off
	global_load_dwordx2 v[10:11], v[8:9], off offset:3296
	v_add_u32_e32 v0, 0x1800, v72
	ds_read2_b64 v[0:3], v0 offset0:156 offset1:240
	v_mad_u64_u32 v[4:5], s[4:5], s8, v12, v[4:5]
	v_add_u32_e32 v5, s2, v5
	;; [unrolled: 32-line block ×4, first 2 shown]
	s_waitcnt vmcnt(0) lgkmcnt(0)
	v_mul_f32_e32 v10, v1, v9
	v_mul_f32_e32 v9, v0, v9
	v_fmac_f32_e32 v10, v0, v8
	v_fma_f32 v8, v8, v1, -v9
	v_cvt_f64_f32_e32 v[0:1], v10
	v_cvt_f64_f32_e32 v[8:9], v8
	v_mul_f64 v[0:1], v[0:1], s[0:1]
	v_mul_f64 v[8:9], v[8:9], s[0:1]
	v_cvt_f32_f64_e32 v0, v[0:1]
	v_cvt_f32_f64_e32 v1, v[8:9]
	global_store_dwordx2 v[4:5], v[0:1], off
	global_load_dwordx2 v[0:1], v[6:7], off offset:2560
	v_mad_u64_u32 v[4:5], s[4:5], s8, v12, v[4:5]
	v_add_u32_e32 v5, s2, v5
	s_waitcnt vmcnt(0)
	v_mul_f32_e32 v6, v3, v1
	v_mul_f32_e32 v1, v2, v1
	v_fmac_f32_e32 v6, v2, v0
	v_fma_f32 v2, v0, v3, -v1
	v_cvt_f64_f32_e32 v[0:1], v6
	v_cvt_f64_f32_e32 v[2:3], v2
	v_mul_f64 v[0:1], v[0:1], s[0:1]
	v_mul_f64 v[2:3], v[2:3], s[0:1]
	v_cvt_f32_f64_e32 v0, v[0:1]
	v_cvt_f32_f64_e32 v1, v[2:3]
	global_store_dwordx2 v[4:5], v[0:1], off
.LBB0_23:
	s_endpgm
	.section	.rodata,"a",@progbits
	.p2align	6, 0x0
	.amdhsa_kernel bluestein_single_fwd_len1428_dim1_sp_op_CI_CI
		.amdhsa_group_segment_fixed_size 11424
		.amdhsa_private_segment_fixed_size 0
		.amdhsa_kernarg_size 104
		.amdhsa_user_sgpr_count 2
		.amdhsa_user_sgpr_dispatch_ptr 0
		.amdhsa_user_sgpr_queue_ptr 0
		.amdhsa_user_sgpr_kernarg_segment_ptr 1
		.amdhsa_user_sgpr_dispatch_id 0
		.amdhsa_user_sgpr_kernarg_preload_length 0
		.amdhsa_user_sgpr_kernarg_preload_offset 0
		.amdhsa_user_sgpr_private_segment_size 0
		.amdhsa_uses_dynamic_stack 0
		.amdhsa_enable_private_segment 0
		.amdhsa_system_sgpr_workgroup_id_x 1
		.amdhsa_system_sgpr_workgroup_id_y 0
		.amdhsa_system_sgpr_workgroup_id_z 0
		.amdhsa_system_sgpr_workgroup_info 0
		.amdhsa_system_vgpr_workitem_id 0
		.amdhsa_next_free_vgpr 312
		.amdhsa_next_free_sgpr 76
		.amdhsa_accum_offset 256
		.amdhsa_reserve_vcc 1
		.amdhsa_float_round_mode_32 0
		.amdhsa_float_round_mode_16_64 0
		.amdhsa_float_denorm_mode_32 3
		.amdhsa_float_denorm_mode_16_64 3
		.amdhsa_dx10_clamp 1
		.amdhsa_ieee_mode 1
		.amdhsa_fp16_overflow 0
		.amdhsa_tg_split 0
		.amdhsa_exception_fp_ieee_invalid_op 0
		.amdhsa_exception_fp_denorm_src 0
		.amdhsa_exception_fp_ieee_div_zero 0
		.amdhsa_exception_fp_ieee_overflow 0
		.amdhsa_exception_fp_ieee_underflow 0
		.amdhsa_exception_fp_ieee_inexact 0
		.amdhsa_exception_int_div_zero 0
	.end_amdhsa_kernel
	.text
.Lfunc_end0:
	.size	bluestein_single_fwd_len1428_dim1_sp_op_CI_CI, .Lfunc_end0-bluestein_single_fwd_len1428_dim1_sp_op_CI_CI
                                        ; -- End function
	.section	.AMDGPU.csdata,"",@progbits
; Kernel info:
; codeLenInByte = 20428
; NumSgprs: 82
; NumVgprs: 256
; NumAgprs: 56
; TotalNumVgprs: 312
; ScratchSize: 0
; MemoryBound: 0
; FloatMode: 240
; IeeeMode: 1
; LDSByteSize: 11424 bytes/workgroup (compile time only)
; SGPRBlocks: 10
; VGPRBlocks: 38
; NumSGPRsForWavesPerEU: 82
; NumVGPRsForWavesPerEU: 312
; AccumOffset: 256
; Occupancy: 1
; WaveLimiterHint : 1
; COMPUTE_PGM_RSRC2:SCRATCH_EN: 0
; COMPUTE_PGM_RSRC2:USER_SGPR: 2
; COMPUTE_PGM_RSRC2:TRAP_HANDLER: 0
; COMPUTE_PGM_RSRC2:TGID_X_EN: 1
; COMPUTE_PGM_RSRC2:TGID_Y_EN: 0
; COMPUTE_PGM_RSRC2:TGID_Z_EN: 0
; COMPUTE_PGM_RSRC2:TIDIG_COMP_CNT: 0
; COMPUTE_PGM_RSRC3_GFX90A:ACCUM_OFFSET: 63
; COMPUTE_PGM_RSRC3_GFX90A:TG_SPLIT: 0
	.text
	.p2alignl 6, 3212836864
	.fill 256, 4, 3212836864
	.type	__hip_cuid_b7e57d27a6bb861c,@object ; @__hip_cuid_b7e57d27a6bb861c
	.section	.bss,"aw",@nobits
	.globl	__hip_cuid_b7e57d27a6bb861c
__hip_cuid_b7e57d27a6bb861c:
	.byte	0                               ; 0x0
	.size	__hip_cuid_b7e57d27a6bb861c, 1

	.ident	"AMD clang version 19.0.0git (https://github.com/RadeonOpenCompute/llvm-project roc-6.4.0 25133 c7fe45cf4b819c5991fe208aaa96edf142730f1d)"
	.section	".note.GNU-stack","",@progbits
	.addrsig
	.addrsig_sym __hip_cuid_b7e57d27a6bb861c
	.amdgpu_metadata
---
amdhsa.kernels:
  - .agpr_count:     56
    .args:
      - .actual_access:  read_only
        .address_space:  global
        .offset:         0
        .size:           8
        .value_kind:     global_buffer
      - .actual_access:  read_only
        .address_space:  global
        .offset:         8
        .size:           8
        .value_kind:     global_buffer
      - .actual_access:  read_only
        .address_space:  global
        .offset:         16
        .size:           8
        .value_kind:     global_buffer
      - .actual_access:  read_only
        .address_space:  global
        .offset:         24
        .size:           8
        .value_kind:     global_buffer
      - .actual_access:  read_only
        .address_space:  global
        .offset:         32
        .size:           8
        .value_kind:     global_buffer
      - .offset:         40
        .size:           8
        .value_kind:     by_value
      - .address_space:  global
        .offset:         48
        .size:           8
        .value_kind:     global_buffer
      - .address_space:  global
        .offset:         56
        .size:           8
        .value_kind:     global_buffer
      - .address_space:  global
        .offset:         64
        .size:           8
        .value_kind:     global_buffer
      - .address_space:  global
        .offset:         72
        .size:           8
        .value_kind:     global_buffer
      - .offset:         80
        .size:           4
        .value_kind:     by_value
      - .address_space:  global
        .offset:         88
        .size:           8
        .value_kind:     global_buffer
      - .address_space:  global
        .offset:         96
        .size:           8
        .value_kind:     global_buffer
    .group_segment_fixed_size: 11424
    .kernarg_segment_align: 8
    .kernarg_segment_size: 104
    .language:       OpenCL C
    .language_version:
      - 2
      - 0
    .max_flat_workgroup_size: 119
    .name:           bluestein_single_fwd_len1428_dim1_sp_op_CI_CI
    .private_segment_fixed_size: 0
    .sgpr_count:     82
    .sgpr_spill_count: 0
    .symbol:         bluestein_single_fwd_len1428_dim1_sp_op_CI_CI.kd
    .uniform_work_group_size: 1
    .uses_dynamic_stack: false
    .vgpr_count:     312
    .vgpr_spill_count: 0
    .wavefront_size: 64
amdhsa.target:   amdgcn-amd-amdhsa--gfx950
amdhsa.version:
  - 1
  - 2
...

	.end_amdgpu_metadata
